;; amdgpu-corpus repo=ROCm/rocFFT kind=compiled arch=gfx906 opt=O3
	.text
	.amdgcn_target "amdgcn-amd-amdhsa--gfx906"
	.amdhsa_code_object_version 6
	.protected	bluestein_single_fwd_len405_dim1_sp_op_CI_CI ; -- Begin function bluestein_single_fwd_len405_dim1_sp_op_CI_CI
	.globl	bluestein_single_fwd_len405_dim1_sp_op_CI_CI
	.p2align	8
	.type	bluestein_single_fwd_len405_dim1_sp_op_CI_CI,@function
bluestein_single_fwd_len405_dim1_sp_op_CI_CI: ; @bluestein_single_fwd_len405_dim1_sp_op_CI_CI
; %bb.0:
	s_load_dwordx4 s[16:19], s[4:5], 0x28
	v_mul_u32_u24_e32 v1, 0x97c, v0
	v_lshrrev_b32_e32 v1, 16, v1
	v_lshl_add_u32 v100, s6, 2, v1
	v_mov_b32_e32 v101, 0
	s_waitcnt lgkmcnt(0)
	v_cmp_gt_u64_e32 vcc, s[16:17], v[100:101]
	s_and_saveexec_b64 s[0:1], vcc
	s_cbranch_execz .LBB0_2
; %bb.1:
	s_load_dwordx4 s[0:3], s[4:5], 0x18
	s_load_dwordx4 s[8:11], s[4:5], 0x0
	v_mul_lo_u16_e32 v2, 27, v1
	v_sub_u16_e32 v113, v0, v2
	v_mov_b32_e32 v8, s19
	s_waitcnt lgkmcnt(0)
	s_load_dwordx4 s[12:15], s[0:1], 0x0
	s_add_u32 s6, s8, 0xca8
	s_addc_u32 s7, s9, 0
	v_lshlrev_b32_e32 v115, 3, v113
	v_mov_b32_e32 v111, 0xfffff6b8
	s_waitcnt lgkmcnt(0)
	v_mad_u64_u32 v[2:3], s[0:1], s14, v100, 0
	v_mad_u64_u32 v[4:5], s[0:1], s12, v113, 0
	v_mov_b32_e32 v0, v3
	global_load_dwordx2 v[107:108], v115, s[8:9] offset:648
	global_load_dwordx2 v[105:106], v115, s[8:9] offset:1296
	;; [unrolled: 1-line block ×3, first 2 shown]
	v_mov_b32_e32 v3, v5
	v_mad_u64_u32 v[5:6], s[0:1], s15, v100, v[0:1]
	v_mad_u64_u32 v[6:7], s[0:1], s13, v113, v[3:4]
	v_mov_b32_e32 v3, v5
	v_lshlrev_b64 v[2:3], 3, v[2:3]
	v_mov_b32_e32 v5, v6
	v_add_co_u32_e32 v0, vcc, s18, v2
	v_addc_co_u32_e32 v6, vcc, v8, v3, vcc
	v_lshlrev_b64 v[2:3], 3, v[4:5]
	s_mul_i32 s0, s13, 0x288
	v_add_co_u32_e32 v2, vcc, v0, v2
	s_mul_hi_u32 s1, s12, 0x288
	v_addc_co_u32_e32 v3, vcc, v6, v3, vcc
	s_add_i32 s0, s1, s0
	s_mul_i32 s1, s12, 0x288
	global_load_dwordx2 v[4:5], v[2:3], off
	v_mov_b32_e32 v0, s0
	v_add_co_u32_e32 v2, vcc, s1, v2
	v_addc_co_u32_e32 v3, vcc, v3, v0, vcc
	v_add_co_u32_e32 v6, vcc, s1, v2
	v_addc_co_u32_e32 v7, vcc, v3, v0, vcc
	v_add_co_u32_e32 v8, vcc, s1, v6
	v_addc_co_u32_e32 v9, vcc, v7, v0, vcc
	v_add_co_u32_e32 v10, vcc, s1, v8
	v_addc_co_u32_e32 v11, vcc, v9, v0, vcc
	global_load_dwordx2 v[12:13], v[2:3], off
	global_load_dwordx2 v[14:15], v[6:7], off
	;; [unrolled: 1-line block ×4, first 2 shown]
	v_mad_u64_u32 v[2:3], s[14:15], s12, v111, v[10:11]
	s_mulk_i32 s13, 0xf6b8
	s_sub_i32 s14, s13, s12
	v_add_u32_e32 v3, s14, v3
	global_load_dwordx2 v[109:110], v115, s[8:9]
	global_load_dwordx2 v[103:104], v115, s[8:9] offset:2592
	global_load_dwordx2 v[6:7], v[2:3], off
	global_load_dwordx2 v[98:99], v115, s[8:9] offset:216
	v_add_co_u32_e32 v2, vcc, s1, v2
	v_addc_co_u32_e32 v3, vcc, v3, v0, vcc
	global_load_dwordx2 v[8:9], v[2:3], off
	global_load_dwordx2 v[96:97], v115, s[8:9] offset:864
	v_add_co_u32_e32 v2, vcc, s1, v2
	v_addc_co_u32_e32 v3, vcc, v3, v0, vcc
	global_load_dwordx2 v[10:11], v[2:3], off
	global_load_dwordx2 v[92:93], v115, s[8:9] offset:1512
	v_add_co_u32_e32 v2, vcc, s1, v2
	v_addc_co_u32_e32 v3, vcc, v3, v0, vcc
	global_load_dwordx2 v[20:21], v[2:3], off
	v_add_co_u32_e32 v2, vcc, s1, v2
	v_addc_co_u32_e32 v3, vcc, v3, v0, vcc
	v_mad_u64_u32 v[22:23], s[12:13], s12, v111, v[2:3]
	global_load_dwordx2 v[94:95], v115, s[8:9] offset:2160
	global_load_dwordx2 v[24:25], v[2:3], off
	global_load_dwordx2 v[90:91], v115, s[8:9] offset:2808
	s_load_dwordx2 s[4:5], s[4:5], 0x38
	v_add_u32_e32 v23, s14, v23
	global_load_dwordx2 v[2:3], v[22:23], off
	global_load_dwordx2 v[86:87], v115, s[8:9] offset:432
	v_add_co_u32_e32 v22, vcc, s1, v22
	v_addc_co_u32_e32 v23, vcc, v23, v0, vcc
	global_load_dwordx2 v[26:27], v[22:23], off
	global_load_dwordx2 v[84:85], v115, s[8:9] offset:1080
	v_add_co_u32_e32 v22, vcc, s1, v22
	v_addc_co_u32_e32 v23, vcc, v23, v0, vcc
	global_load_dwordx2 v[28:29], v[22:23], off
	global_load_dwordx2 v[82:83], v115, s[8:9] offset:2376
	global_load_dwordx2 v[88:89], v115, s[8:9] offset:1728
	v_add_co_u32_e32 v22, vcc, s1, v22
	v_addc_co_u32_e32 v23, vcc, v23, v0, vcc
	global_load_dwordx2 v[30:31], v[22:23], off
	v_add_co_u32_e32 v22, vcc, s1, v22
	v_addc_co_u32_e32 v23, vcc, v23, v0, vcc
	global_load_dwordx2 v[32:33], v[22:23], off
	global_load_dwordx2 v[80:81], v115, s[8:9] offset:3024
	v_and_b32_e32 v0, 3, v1
	v_mul_u32_u24_e32 v1, 0x195, v0
	v_lshlrev_b32_e32 v36, 3, v1
	v_add_u32_e32 v112, v36, v115
	v_add_u32_e32 v114, 0x800, v112
	s_load_dwordx4 s[0:3], s[2:3], 0x0
	s_waitcnt vmcnt(21)
	v_mul_f32_e32 v0, v5, v110
	v_mul_f32_e32 v1, v4, v110
	v_fmac_f32_e32 v0, v4, v109
	v_fma_f32 v1, v5, v109, -v1
	v_mul_f32_e32 v4, v13, v108
	v_mul_f32_e32 v5, v12, v108
	v_fmac_f32_e32 v4, v12, v107
	v_fma_f32 v5, v13, v107, -v5
	ds_write_b64 v112, v[4:5] offset:648
	v_mul_f32_e32 v4, v15, v106
	v_mul_f32_e32 v5, v14, v106
	v_fmac_f32_e32 v4, v14, v105
	v_fma_f32 v5, v15, v105, -v5
	ds_write_b64 v112, v[4:5] offset:1296
	;; [unrolled: 5-line block ×3, first 2 shown]
	s_waitcnt vmcnt(20)
	v_mul_f32_e32 v4, v19, v104
	v_mul_f32_e32 v5, v18, v104
	v_fmac_f32_e32 v4, v18, v103
	v_fma_f32 v5, v19, v103, -v5
	ds_write_b64 v112, v[4:5] offset:2592
	s_waitcnt vmcnt(18)
	v_mul_f32_e32 v4, v7, v99
	v_mul_f32_e32 v5, v6, v99
	v_fmac_f32_e32 v4, v6, v98
	v_fma_f32 v5, v7, v98, -v5
	ds_write2_b64 v112, v[0:1], v[4:5] offset1:27
	s_waitcnt vmcnt(14)
	v_mul_f32_e32 v4, v11, v93
	v_fmac_f32_e32 v4, v10, v92
	v_mul_f32_e32 v5, v10, v93
	s_waitcnt vmcnt(8)
	v_mul_f32_e32 v10, v3, v87
	v_fmac_f32_e32 v10, v2, v86
	v_mul_f32_e32 v2, v2, v87
	v_mul_f32_e32 v0, v9, v97
	;; [unrolled: 1-line block ×3, first 2 shown]
	v_fma_f32 v5, v11, v92, -v5
	v_fma_f32 v11, v3, v86, -v2
	s_waitcnt vmcnt(6)
	v_mul_f32_e32 v2, v27, v85
	v_mul_f32_e32 v3, v26, v85
	v_fmac_f32_e32 v0, v8, v96
	v_fma_f32 v1, v9, v96, -v1
	v_fmac_f32_e32 v2, v26, v84
	v_fma_f32 v3, v27, v84, -v3
	ds_write2_b64 v112, v[0:1], v[2:3] offset0:108 offset1:135
	s_waitcnt vmcnt(3)
	v_mul_f32_e32 v0, v29, v89
	v_mul_f32_e32 v1, v28, v89
	v_fmac_f32_e32 v0, v28, v88
	v_fma_f32 v1, v29, v88, -v1
	v_mul_f32_e32 v6, v21, v95
	v_mul_f32_e32 v7, v20, v95
	ds_write2_b64 v112, v[4:5], v[0:1] offset0:189 offset1:216
	s_waitcnt vmcnt(2)
	v_mul_f32_e32 v0, v31, v83
	v_mul_f32_e32 v1, v30, v83
	v_fmac_f32_e32 v6, v20, v94
	v_fma_f32 v7, v21, v94, -v7
	v_fmac_f32_e32 v0, v30, v82
	v_fma_f32 v1, v31, v82, -v1
	v_mul_f32_e32 v8, v25, v91
	v_mul_f32_e32 v9, v24, v91
	ds_write2_b64 v114, v[6:7], v[0:1] offset0:14 offset1:41
	s_waitcnt vmcnt(0)
	v_mul_f32_e32 v0, v33, v81
	v_mul_f32_e32 v1, v32, v81
	v_fmac_f32_e32 v8, v24, v90
	v_fma_f32 v9, v25, v90, -v9
	v_fmac_f32_e32 v0, v32, v80
	v_fma_f32 v1, v33, v80, -v1
	ds_write_b64 v112, v[10:11] offset:432
	ds_write2_b64 v114, v[8:9], v[0:1] offset0:95 offset1:122
	s_waitcnt lgkmcnt(0)
	s_barrier
	ds_read2_b64 v[4:7], v112 offset1:27
	ds_read2_b64 v[0:3], v112 offset0:54 offset1:81
	ds_read2_b64 v[8:11], v112 offset0:162 offset1:189
	;; [unrolled: 1-line block ×5, first 2 shown]
	s_waitcnt lgkmcnt(4)
	v_add_f32_e32 v24, v4, v2
	s_waitcnt lgkmcnt(3)
	v_add_f32_e32 v28, v24, v8
	v_add_f32_e32 v24, v5, v3
	;; [unrolled: 1-line block ×3, first 2 shown]
	ds_read2_b64 v[24:27], v114 offset0:68 offset1:95
	s_waitcnt lgkmcnt(3)
	v_add_f32_e32 v30, v8, v14
	v_sub_f32_e32 v32, v2, v8
	v_sub_f32_e32 v33, v8, v2
	;; [unrolled: 1-line block ×3, first 2 shown]
	s_waitcnt lgkmcnt(2)
	v_add_f32_e32 v8, v6, v16
	v_sub_f32_e32 v31, v9, v15
	v_add_f32_e32 v34, v9, v15
	v_sub_f32_e32 v37, v3, v9
	v_sub_f32_e32 v38, v9, v3
	v_add_f32_e32 v8, v8, v10
	v_add_f32_e32 v9, v7, v17
	s_waitcnt lgkmcnt(0)
	v_add_f32_e32 v47, v2, v24
	v_sub_f32_e32 v48, v2, v24
	v_add_f32_e32 v2, v0, v18
	v_add_f32_e32 v39, v10, v20
	v_sub_f32_e32 v41, v16, v10
	v_sub_f32_e32 v42, v10, v16
	v_add_f32_e32 v9, v9, v11
	v_sub_f32_e32 v44, v10, v20
	v_add_f32_e32 v10, v28, v14
	v_add_f32_e32 v8, v8, v20
	v_sub_f32_e32 v52, v26, v20
	v_sub_f32_e32 v54, v20, v26
	v_add_f32_e32 v20, v2, v12
	v_add_f32_e32 v2, v1, v19
	v_sub_f32_e32 v40, v11, v21
	v_add_f32_e32 v43, v11, v21
	v_add_f32_e32 v28, v10, v24
	;; [unrolled: 1-line block ×3, first 2 shown]
	v_sub_f32_e32 v10, v3, v25
	v_add_f32_e32 v50, v3, v25
	v_sub_f32_e32 v55, v27, v21
	v_sub_f32_e32 v56, v21, v27
	v_add_f32_e32 v21, v2, v13
	ds_read_b64 v[2:3], v112 offset:3024
	v_sub_f32_e32 v45, v17, v11
	v_sub_f32_e32 v46, v11, v17
	v_add_f32_e32 v11, v29, v15
	v_sub_f32_e32 v58, v13, v23
	v_add_f32_e32 v61, v13, v23
	v_sub_f32_e32 v63, v19, v13
	v_sub_f32_e32 v64, v13, v19
	v_add_f32_e32 v13, v21, v23
	v_fma_f32 v21, -0.5, v34, v5
	v_add_f32_e32 v29, v11, v25
	v_sub_f32_e32 v49, v25, v15
	v_sub_f32_e32 v15, v15, v25
	s_waitcnt lgkmcnt(0)
	v_sub_f32_e32 v69, v3, v23
	v_sub_f32_e32 v70, v23, v3
	v_mov_b32_e32 v23, v21
	v_fma_f32 v25, -0.5, v50, v5
	v_add_f32_e32 v9, v9, v27
	v_sub_f32_e32 v51, v17, v27
	v_add_f32_e32 v17, v17, v27
	v_fmac_f32_e32 v23, 0xbf737871, v48
	v_fmac_f32_e32 v21, 0x3f737871, v48
	v_mov_b32_e32 v27, v25
	v_sub_f32_e32 v11, v24, v14
	v_sub_f32_e32 v14, v14, v24
	v_add_f32_e32 v57, v12, v22
	v_sub_f32_e32 v59, v18, v12
	v_sub_f32_e32 v60, v12, v18
	;; [unrolled: 1-line block ×3, first 2 shown]
	v_add_f32_e32 v12, v20, v22
	v_fma_f32 v20, -0.5, v30, v4
	v_fma_f32 v24, -0.5, v47, v4
	v_add_f32_e32 v4, v37, v49
	v_fmac_f32_e32 v23, 0xbf167918, v35
	v_fmac_f32_e32 v21, 0x3f167918, v35
	v_fmac_f32_e32 v27, 0x3f737871, v35
	v_fmac_f32_e32 v25, 0xbf737871, v35
	v_add_f32_e32 v8, v8, v26
	v_add_f32_e32 v53, v16, v26
	v_sub_f32_e32 v16, v16, v26
	v_mov_b32_e32 v26, v24
	v_fmac_f32_e32 v23, 0x3e9e377a, v4
	v_fmac_f32_e32 v21, 0x3e9e377a, v4
	v_add_f32_e32 v4, v38, v15
	v_fmac_f32_e32 v27, 0xbf167918, v48
	v_fmac_f32_e32 v25, 0x3f167918, v48
	v_add_f32_e32 v66, v18, v2
	v_sub_f32_e32 v67, v18, v2
	v_sub_f32_e32 v18, v2, v22
	;; [unrolled: 1-line block ×3, first 2 shown]
	v_mov_b32_e32 v22, v20
	v_fmac_f32_e32 v26, 0xbf737871, v31
	v_fmac_f32_e32 v24, 0x3f737871, v31
	;; [unrolled: 1-line block ×4, first 2 shown]
	v_fma_f32 v4, -0.5, v39, v6
	v_fmac_f32_e32 v22, 0x3f737871, v10
	v_fmac_f32_e32 v20, 0xbf737871, v10
	;; [unrolled: 1-line block ×4, first 2 shown]
	v_mov_b32_e32 v10, v4
	v_fma_f32 v6, -0.5, v53, v6
	v_add_f32_e32 v2, v12, v2
	v_fmac_f32_e32 v10, 0x3f737871, v51
	v_fmac_f32_e32 v4, 0xbf737871, v51
	v_mov_b32_e32 v12, v6
	v_add_f32_e32 v5, v41, v52
	v_fmac_f32_e32 v10, 0x3f167918, v40
	v_fmac_f32_e32 v4, 0xbf167918, v40
	v_fmac_f32_e32 v12, 0xbf737871, v40
	v_fmac_f32_e32 v6, 0x3f737871, v40
	v_add_f32_e32 v11, v32, v11
	v_fmac_f32_e32 v22, 0x3f167918, v31
	v_fmac_f32_e32 v20, 0xbf167918, v31
	v_fmac_f32_e32 v10, 0x3e9e377a, v5
	v_fmac_f32_e32 v4, 0x3e9e377a, v5
	;; [unrolled: 5-line block ×3, first 2 shown]
	v_add_f32_e32 v11, v33, v14
	v_fmac_f32_e32 v12, 0x3e9e377a, v5
	v_fmac_f32_e32 v6, 0x3e9e377a, v5
	v_fma_f32 v5, -0.5, v43, v7
	v_fmac_f32_e32 v26, 0x3e9e377a, v11
	v_fmac_f32_e32 v24, 0x3e9e377a, v11
	v_mov_b32_e32 v11, v5
	v_fmac_f32_e32 v11, 0xbf737871, v16
	v_fmac_f32_e32 v5, 0x3f737871, v16
	v_sub_f32_e32 v65, v19, v3
	v_add_f32_e32 v19, v19, v3
	v_add_f32_e32 v3, v13, v3
	;; [unrolled: 1-line block ×3, first 2 shown]
	v_fmac_f32_e32 v11, 0xbf167918, v44
	v_fmac_f32_e32 v5, 0x3f167918, v44
	v_fmac_f32_e32 v7, -0.5, v17
	v_fmac_f32_e32 v11, 0x3e9e377a, v13
	v_fmac_f32_e32 v5, 0x3e9e377a, v13
	v_mov_b32_e32 v13, v7
	v_fmac_f32_e32 v13, 0x3f737871, v44
	v_fmac_f32_e32 v7, 0xbf737871, v44
	v_add_f32_e32 v14, v46, v56
	v_fmac_f32_e32 v13, 0xbf167918, v16
	v_fmac_f32_e32 v7, 0x3f167918, v16
	;; [unrolled: 1-line block ×4, first 2 shown]
	v_fma_f32 v14, -0.5, v57, v0
	v_mov_b32_e32 v16, v14
	v_fma_f32 v0, -0.5, v66, v0
	v_add_f32_e32 v15, v59, v18
	v_fmac_f32_e32 v16, 0x3f737871, v65
	v_fmac_f32_e32 v14, 0xbf737871, v65
	v_mov_b32_e32 v18, v0
	v_fmac_f32_e32 v16, 0x3f167918, v58
	v_fmac_f32_e32 v14, 0xbf167918, v58
	;; [unrolled: 1-line block ×6, first 2 shown]
	v_add_f32_e32 v15, v60, v68
	v_fmac_f32_e32 v18, 0x3f167918, v65
	v_fmac_f32_e32 v0, 0xbf167918, v65
	;; [unrolled: 1-line block ×4, first 2 shown]
	v_fma_f32 v15, -0.5, v61, v1
	v_mov_b32_e32 v17, v15
	v_fmac_f32_e32 v1, -0.5, v19
	v_fmac_f32_e32 v17, 0xbf737871, v67
	v_fmac_f32_e32 v15, 0x3f737871, v67
	v_mov_b32_e32 v19, v1
	v_add_f32_e32 v30, v63, v69
	v_fmac_f32_e32 v17, 0xbf167918, v62
	v_fmac_f32_e32 v15, 0x3f167918, v62
	;; [unrolled: 1-line block ×6, first 2 shown]
	v_add_f32_e32 v30, v64, v70
	v_fmac_f32_e32 v19, 0xbf167918, v67
	v_fmac_f32_e32 v1, 0x3f167918, v67
	v_add_co_u32_e32 v48, vcc, 54, v113
	v_fmac_f32_e32 v19, 0x3e9e377a, v30
	v_fmac_f32_e32 v1, 0x3e9e377a, v30
	v_mul_lo_u16_e32 v30, 5, v113
	v_lshl_add_u32 v116, v30, 3, v36
	v_add_co_u32_e32 v37, vcc, 27, v113
	s_barrier
	ds_write2_b64 v116, v[28:29], v[22:23] offset1:1
	ds_write2_b64 v116, v[26:27], v[24:25] offset0:2 offset1:3
	ds_write_b64 v116, v[20:21] offset:32
	v_mul_u32_u24_e32 v20, 5, v37
	v_lshl_add_u32 v132, v20, 3, v36
	v_addc_co_u32_e64 v30, s[12:13], 0, 0, vcc
	ds_write2_b64 v132, v[8:9], v[10:11] offset1:1
	ds_write2_b64 v132, v[12:13], v[6:7] offset0:2 offset1:3
	ds_write_b64 v132, v[4:5] offset:32
	v_mul_u32_u24_e32 v4, 5, v48
	v_lshl_add_u32 v131, v4, 3, v36
	s_movk_i32 s12, 0xcd
	ds_write2_b64 v131, v[2:3], v[16:17] offset1:1
	ds_write2_b64 v131, v[18:19], v[0:1] offset0:2 offset1:3
	ds_write_b64 v131, v[14:15] offset:32
	v_mul_lo_u16_sdwa v0, v113, s12 dst_sel:DWORD dst_unused:UNUSED_PAD src0_sel:BYTE_0 src1_sel:DWORD
	v_lshrrev_b16_e32 v12, 10, v0
	v_mul_lo_u16_e32 v0, 5, v12
	v_sub_u16_e32 v13, v113, v0
	v_lshlrev_b16_e32 v0, 1, v13
	v_and_b32_e32 v0, 0xfe, v0
	v_lshlrev_b32_e32 v0, 3, v0
	s_waitcnt lgkmcnt(0)
	s_barrier
	v_mul_lo_u16_sdwa v1, v37, s12 dst_sel:DWORD dst_unused:UNUSED_PAD src0_sel:BYTE_0 src1_sel:DWORD
	global_load_dwordx4 v[52:55], v0, s[10:11]
	v_lshrrev_b16_e32 v17, 10, v1
	v_mul_lo_u16_e32 v0, 5, v17
	v_sub_u16_e32 v18, v37, v0
	v_mov_b32_e32 v16, 4
	v_lshlrev_b32_sdwa v0, v16, v18 dst_sel:DWORD dst_unused:UNUSED_PAD src0_sel:DWORD src1_sel:BYTE_0
	global_load_dwordx4 v[56:59], v0, s[10:11]
	v_mul_lo_u16_sdwa v0, v48, s12 dst_sel:DWORD dst_unused:UNUSED_PAD src0_sel:BYTE_0 src1_sel:DWORD
	v_lshrrev_b16_e32 v19, 10, v0
	v_mul_lo_u16_e32 v0, 5, v19
	v_sub_u16_e32 v20, v48, v0
	s_movk_i32 s13, 0x51
	v_lshlrev_b32_sdwa v0, v16, v20 dst_sel:DWORD dst_unused:UNUSED_PAD src0_sel:DWORD src1_sel:BYTE_0
	v_add_co_u32_e32 v72, vcc, s13, v113
	global_load_dwordx4 v[60:63], v0, s[10:11]
	v_mul_lo_u16_sdwa v0, v72, s12 dst_sel:DWORD dst_unused:UNUSED_PAD src0_sel:BYTE_0 src1_sel:DWORD
	v_lshrrev_b16_e32 v21, 10, v0
	v_mul_lo_u16_e32 v0, 5, v21
	v_sub_u16_e32 v22, v72, v0
	s_movk_i32 s13, 0x6c
	v_lshlrev_b32_sdwa v0, v16, v22 dst_sel:DWORD dst_unused:UNUSED_PAD src0_sel:DWORD src1_sel:BYTE_0
	v_add_co_u32_e32 v76, vcc, s13, v113
	global_load_dwordx4 v[64:67], v0, s[10:11]
	v_mul_lo_u16_sdwa v0, v76, s12 dst_sel:DWORD dst_unused:UNUSED_PAD src0_sel:BYTE_0 src1_sel:DWORD
	v_lshrrev_b16_e32 v23, 10, v0
	v_mul_lo_u16_e32 v0, 5, v23
	v_sub_u16_e32 v24, v76, v0
	v_lshlrev_b32_sdwa v0, v16, v24 dst_sel:DWORD dst_unused:UNUSED_PAD src0_sel:DWORD src1_sel:BYTE_0
	global_load_dwordx4 v[68:71], v0, s[10:11]
	ds_read2_b64 v[0:3], v114 offset0:14 offset1:41
	v_mad_legacy_u16 v44, v12, 15, v13
	v_and_b32_e32 v44, 0xff, v44
	v_lshl_add_u32 v130, v44, 3, v36
	s_waitcnt vmcnt(4) lgkmcnt(0)
	v_mul_f32_e32 v4, v1, v55
	v_fma_f32 v14, v0, v54, -v4
	ds_read2_b64 v[4:7], v112 offset0:162 offset1:189
	v_mul_f32_e32 v10, v0, v55
	v_fmac_f32_e32 v10, v1, v54
	s_waitcnt vmcnt(3)
	v_mul_f32_e32 v0, v3, v59
	v_fma_f32 v25, v2, v58, -v0
	v_mul_f32_e32 v26, v2, v59
	s_waitcnt lgkmcnt(0)
	v_mul_f32_e32 v0, v5, v57
	v_fmac_f32_e32 v26, v3, v58
	v_fma_f32 v27, v4, v56, -v0
	ds_read2_b64 v[0:3], v114 offset0:68 offset1:95
	v_mul_f32_e32 v28, v4, v57
	v_fmac_f32_e32 v28, v5, v56
	s_waitcnt vmcnt(2)
	v_mul_f32_e32 v4, v7, v61
	v_fma_f32 v29, v6, v60, -v4
	v_mul_f32_e32 v31, v6, v61
	s_waitcnt lgkmcnt(0)
	v_mul_f32_e32 v4, v1, v63
	v_fmac_f32_e32 v31, v7, v60
	;; [unrolled: 11-line block ×3, first 2 shown]
	v_fma_f32 v38, v4, v64, -v0
	ds_read2_b64 v[0:3], v112 offset0:108 offset1:135
	v_mul_f32_e32 v39, v4, v65
	s_waitcnt vmcnt(0)
	v_mul_f32_e32 v4, v7, v69
	v_mul_f32_e32 v41, v6, v69
	v_fmac_f32_e32 v39, v5, v64
	v_fma_f32 v40, v6, v68, -v4
	v_fmac_f32_e32 v41, v7, v68
	ds_read2_b64 v[4:7], v112 offset1:27
	s_waitcnt lgkmcnt(1)
	v_mul_f32_e32 v8, v3, v53
	v_fma_f32 v15, v2, v52, -v8
	v_mul_f32_e32 v2, v2, v53
	v_fmac_f32_e32 v2, v3, v52
	s_waitcnt lgkmcnt(0)
	v_add_f32_e32 v3, v4, v15
	v_add_f32_e32 v8, v3, v14
	;; [unrolled: 1-line block ×4, first 2 shown]
	v_sub_f32_e32 v42, v2, v10
	v_add_f32_e32 v2, v2, v10
	v_add_f32_e32 v3, v15, v14
	v_fma_f32 v10, -0.5, v3, v4
	v_fma_f32 v11, -0.5, v2, v5
	v_sub_f32_e32 v43, v15, v14
	v_mov_b32_e32 v12, v10
	v_mov_b32_e32 v13, v11
	v_fmac_f32_e32 v12, 0x3f5db3d7, v42
	v_fmac_f32_e32 v13, 0xbf5db3d7, v43
	;; [unrolled: 1-line block ×4, first 2 shown]
	ds_read_b64 v[14:15], v112 offset:3024
	ds_read2_b64 v[2:5], v112 offset0:54 offset1:81
	s_waitcnt lgkmcnt(0)
	s_barrier
	ds_write2_b64 v130, v[8:9], v[12:13] offset1:5
	ds_write_b64 v130, v[10:11] offset:80
	v_add_f32_e32 v9, v27, v25
	v_add_f32_e32 v10, v28, v26
	;; [unrolled: 1-line block ×3, first 2 shown]
	v_fma_f32 v6, -0.5, v9, v6
	v_add_f32_e32 v9, v7, v28
	v_fmac_f32_e32 v7, -0.5, v10
	v_mul_lo_u16_e32 v10, 15, v17
	v_sub_f32_e32 v12, v28, v26
	v_sub_f32_e32 v13, v27, v25
	v_add_u32_sdwa v17, v10, v18 dst_sel:DWORD dst_unused:UNUSED_PAD src0_sel:BYTE_0 src1_sel:BYTE_0
	v_mov_b32_e32 v10, v6
	v_mov_b32_e32 v11, v7
	v_add_f32_e32 v8, v8, v25
	v_add_f32_e32 v9, v9, v26
	v_fmac_f32_e32 v10, 0x3f5db3d7, v12
	v_fmac_f32_e32 v11, 0xbf5db3d7, v13
	v_lshl_add_u32 v129, v17, 3, v36
	ds_write2_b64 v129, v[8:9], v[10:11] offset1:5
	v_fmac_f32_e32 v6, 0xbf5db3d7, v12
	v_fmac_f32_e32 v7, 0x3f5db3d7, v13
	v_add_f32_e32 v8, v31, v33
	v_add_f32_e32 v9, v29, v32
	ds_write_b64 v129, v[6:7] offset:80
	v_add_f32_e32 v6, v2, v29
	v_add_f32_e32 v7, v3, v31
	v_fma_f32 v2, -0.5, v9, v2
	v_fma_f32 v3, -0.5, v8, v3
	v_mul_u32_u24_e32 v8, 15, v19
	v_sub_f32_e32 v10, v31, v33
	v_sub_f32_e32 v11, v29, v32
	v_add_u32_sdwa v12, v8, v20 dst_sel:DWORD dst_unused:UNUSED_PAD src0_sel:DWORD src1_sel:BYTE_0
	v_mov_b32_e32 v8, v2
	v_mov_b32_e32 v9, v3
	v_add_f32_e32 v6, v6, v32
	v_add_f32_e32 v7, v7, v33
	v_fmac_f32_e32 v8, 0x3f5db3d7, v10
	v_fmac_f32_e32 v9, 0xbf5db3d7, v11
	v_lshl_add_u32 v127, v12, 3, v36
	v_fmac_f32_e32 v2, 0xbf5db3d7, v10
	v_fmac_f32_e32 v3, 0x3f5db3d7, v11
	ds_write2_b64 v127, v[6:7], v[8:9] offset1:5
	ds_write_b64 v127, v[2:3] offset:80
	v_add_f32_e32 v3, v38, v34
	v_add_f32_e32 v6, v39, v35
	;; [unrolled: 1-line block ×3, first 2 shown]
	v_fma_f32 v4, -0.5, v3, v4
	v_add_f32_e32 v3, v5, v39
	v_fmac_f32_e32 v5, -0.5, v6
	v_mul_u32_u24_e32 v6, 15, v21
	v_sub_f32_e32 v8, v39, v35
	v_sub_f32_e32 v9, v38, v34
	v_add_u32_sdwa v10, v6, v22 dst_sel:DWORD dst_unused:UNUSED_PAD src0_sel:DWORD src1_sel:BYTE_0
	v_mov_b32_e32 v6, v4
	v_mov_b32_e32 v7, v5
	v_add_f32_e32 v2, v2, v34
	v_add_f32_e32 v3, v3, v35
	v_fmac_f32_e32 v6, 0x3f5db3d7, v8
	v_fmac_f32_e32 v7, 0xbf5db3d7, v9
	v_lshl_add_u32 v126, v10, 3, v36
	ds_write2_b64 v126, v[2:3], v[6:7] offset1:5
	v_mul_f32_e32 v2, v15, v71
	v_fma_f32 v3, v14, v70, -v2
	v_fmac_f32_e32 v4, 0xbf5db3d7, v8
	v_fmac_f32_e32 v5, 0x3f5db3d7, v9
	v_mul_f32_e32 v6, v14, v71
	v_add_f32_e32 v2, v40, v3
	ds_write_b64 v126, v[4:5] offset:80
	v_fmac_f32_e32 v6, v15, v70
	v_add_f32_e32 v4, v0, v40
	v_fma_f32 v0, -0.5, v2, v0
	v_sub_f32_e32 v5, v41, v6
	v_mov_b32_e32 v2, v0
	v_fmac_f32_e32 v2, 0x3f5db3d7, v5
	v_fmac_f32_e32 v0, 0xbf5db3d7, v5
	v_add_f32_e32 v5, v1, v41
	v_add_f32_e32 v5, v5, v6
	;; [unrolled: 1-line block ×3, first 2 shown]
	v_fmac_f32_e32 v1, -0.5, v6
	v_add_f32_e32 v4, v4, v3
	v_sub_f32_e32 v6, v40, v3
	v_mov_b32_e32 v3, v1
	v_fmac_f32_e32 v3, 0xbf5db3d7, v6
	v_fmac_f32_e32 v1, 0x3f5db3d7, v6
	v_mul_u32_u24_e32 v6, 15, v23
	v_add_u32_sdwa v6, v6, v24 dst_sel:DWORD dst_unused:UNUSED_PAD src0_sel:DWORD src1_sel:BYTE_0
	v_lshl_add_u32 v128, v6, 3, v36
	ds_write2_b64 v128, v[4:5], v[2:3] offset1:5
	ds_write_b64 v128, v[0:1] offset:80
	v_add_co_u32_e32 v0, vcc, -15, v113
	v_addc_co_u32_e64 v1, s[12:13], 0, -1, vcc
	v_cmp_gt_u16_e32 vcc, 15, v113
	v_cndmask_b32_e64 v9, v1, 0, vcc
	v_cndmask_b32_e32 v8, v0, v113, vcc
	v_lshlrev_b64 v[0:1], 4, v[8:9]
	v_mov_b32_e32 v19, s11
	v_add_co_u32_e32 v0, vcc, s10, v0
	s_movk_i32 s12, 0x89
	v_addc_co_u32_e32 v1, vcc, v19, v1, vcc
	v_mul_lo_u16_sdwa v2, v37, s12 dst_sel:DWORD dst_unused:UNUSED_PAD src0_sel:BYTE_0 src1_sel:DWORD
	s_waitcnt lgkmcnt(0)
	s_barrier
	global_load_dwordx4 v[12:15], v[0:1], off offset:80
	v_lshrrev_b16_e32 v31, 11, v2
	v_mul_lo_u16_e32 v0, 15, v31
	v_sub_u16_e32 v38, v37, v0
	v_lshlrev_b32_sdwa v0, v16, v38 dst_sel:DWORD dst_unused:UNUSED_PAD src0_sel:DWORD src1_sel:BYTE_0
	global_load_dwordx4 v[20:23], v0, s[10:11] offset:80
	v_mul_lo_u16_sdwa v0, v48, s12 dst_sel:DWORD dst_unused:UNUSED_PAD src0_sel:BYTE_0 src1_sel:DWORD
	v_lshrrev_b16_e32 v39, 11, v0
	v_mul_lo_u16_e32 v0, 15, v39
	v_sub_u16_e32 v40, v48, v0
	v_lshlrev_b32_sdwa v0, v16, v40 dst_sel:DWORD dst_unused:UNUSED_PAD src0_sel:DWORD src1_sel:BYTE_0
	global_load_dwordx4 v[24:27], v0, s[10:11] offset:80
	v_mul_lo_u16_sdwa v0, v72, s12 dst_sel:DWORD dst_unused:UNUSED_PAD src0_sel:BYTE_0 src1_sel:DWORD
	v_lshrrev_b16_e32 v41, 11, v0
	v_mul_lo_u16_e32 v0, 15, v41
	v_sub_u16_e32 v42, v72, v0
	v_lshlrev_b32_sdwa v0, v16, v42 dst_sel:DWORD dst_unused:UNUSED_PAD src0_sel:DWORD src1_sel:BYTE_0
	global_load_dwordx4 v[32:35], v0, s[10:11] offset:80
	v_mul_lo_u16_sdwa v0, v76, s12 dst_sel:DWORD dst_unused:UNUSED_PAD src0_sel:BYTE_0 src1_sel:DWORD
	v_lshrrev_b16_e32 v43, 11, v0
	v_mul_lo_u16_e32 v0, 15, v43
	v_sub_u16_e32 v49, v76, v0
	v_lshlrev_b32_sdwa v0, v16, v49 dst_sel:DWORD dst_unused:UNUSED_PAD src0_sel:DWORD src1_sel:BYTE_0
	global_load_dwordx4 v[44:47], v0, s[10:11] offset:80
	ds_read2_b64 v[0:3], v114 offset0:14 offset1:41
	v_cmp_lt_u16_e32 vcc, 14, v113
	s_movk_i32 s12, 0xffee
	v_lshlrev_b32_e32 v48, 4, v48
	s_waitcnt vmcnt(4) lgkmcnt(0)
	v_mul_f32_e32 v4, v1, v15
	v_fma_f32 v17, v0, v14, -v4
	ds_read2_b64 v[4:7], v112 offset0:162 offset1:189
	v_mul_f32_e32 v10, v0, v15
	v_fmac_f32_e32 v10, v1, v14
	s_waitcnt vmcnt(3)
	v_mul_f32_e32 v0, v3, v23
	v_fma_f32 v50, v2, v22, -v0
	v_mul_f32_e32 v51, v2, v23
	s_waitcnt lgkmcnt(0)
	v_mul_f32_e32 v0, v5, v21
	v_fmac_f32_e32 v51, v3, v22
	v_fma_f32 v73, v4, v20, -v0
	ds_read2_b64 v[0:3], v114 offset0:68 offset1:95
	v_mul_f32_e32 v74, v4, v21
	s_waitcnt vmcnt(2)
	v_mul_f32_e32 v4, v7, v25
	v_fma_f32 v75, v6, v24, -v4
	v_mul_f32_e32 v77, v6, v25
	s_waitcnt lgkmcnt(0)
	v_mul_f32_e32 v4, v1, v27
	v_fmac_f32_e32 v74, v5, v20
	v_fmac_f32_e32 v77, v7, v24
	v_fma_f32 v78, v0, v26, -v4
	ds_read2_b64 v[4:7], v112 offset0:216 offset1:243
	v_mul_f32_e32 v79, v0, v27
	s_waitcnt vmcnt(1)
	v_mul_f32_e32 v0, v3, v35
	v_fma_f32 v117, v2, v34, -v0
	v_mul_f32_e32 v120, v2, v35
	s_waitcnt lgkmcnt(0)
	v_mul_f32_e32 v0, v5, v33
	v_fma_f32 v122, v4, v32, -v0
	s_waitcnt vmcnt(0)
	v_mul_f32_e32 v0, v7, v45
	v_fmac_f32_e32 v79, v1, v26
	v_fmac_f32_e32 v120, v3, v34
	v_fma_f32 v124, v6, v44, -v0
	ds_read2_b64 v[0:3], v112 offset0:108 offset1:135
	v_mul_f32_e32 v123, v4, v33
	v_mul_f32_e32 v125, v6, v45
	v_cndmask_b32_e64 v4, 0, 45, vcc
	v_fmac_f32_e32 v123, v5, v32
	v_fmac_f32_e32 v125, v7, v44
	v_add_u32_e32 v118, v8, v4
	ds_read2_b64 v[4:7], v112 offset1:27
	s_waitcnt lgkmcnt(1)
	v_mul_f32_e32 v8, v3, v13
	v_fma_f32 v18, v2, v12, -v8
	v_mul_f32_e32 v2, v2, v13
	v_fmac_f32_e32 v2, v3, v12
	s_waitcnt lgkmcnt(0)
	v_add_f32_e32 v3, v4, v18
	v_add_f32_e32 v8, v3, v17
	v_add_f32_e32 v3, v5, v2
	v_add_f32_e32 v9, v3, v10
	v_sub_f32_e32 v119, v2, v10
	v_add_f32_e32 v2, v2, v10
	v_add_f32_e32 v3, v18, v17
	v_fma_f32 v10, -0.5, v3, v4
	v_fma_f32 v11, -0.5, v2, v5
	v_sub_f32_e32 v133, v18, v17
	v_mov_b32_e32 v17, v10
	v_mov_b32_e32 v18, v11
	v_fmac_f32_e32 v17, 0x3f5db3d7, v119
	v_fmac_f32_e32 v18, 0xbf5db3d7, v133
	v_lshl_add_u32 v121, v118, 3, v36
	v_fmac_f32_e32 v10, 0xbf5db3d7, v119
	v_fmac_f32_e32 v11, 0x3f5db3d7, v133
	ds_read_b64 v[28:29], v112 offset:3024
	ds_read2_b64 v[2:5], v112 offset0:54 offset1:81
	s_waitcnt lgkmcnt(0)
	s_barrier
	ds_write2_b64 v121, v[8:9], v[17:18] offset1:15
	ds_write_b64 v121, v[10:11] offset:240
	v_add_f32_e32 v9, v73, v50
	v_add_f32_e32 v10, v74, v51
	;; [unrolled: 1-line block ×3, first 2 shown]
	v_fma_f32 v6, -0.5, v9, v6
	v_add_f32_e32 v9, v7, v74
	v_fmac_f32_e32 v7, -0.5, v10
	v_mul_u32_u24_e32 v10, 45, v31
	v_sub_f32_e32 v17, v74, v51
	v_sub_f32_e32 v18, v73, v50
	v_add_u32_sdwa v31, v10, v38 dst_sel:DWORD dst_unused:UNUSED_PAD src0_sel:DWORD src1_sel:BYTE_0
	v_mov_b32_e32 v10, v6
	v_mov_b32_e32 v11, v7
	v_add_f32_e32 v8, v8, v50
	v_add_f32_e32 v9, v9, v51
	v_fmac_f32_e32 v10, 0x3f5db3d7, v17
	v_fmac_f32_e32 v11, 0xbf5db3d7, v18
	v_lshl_add_u32 v119, v31, 3, v36
	ds_write2_b64 v119, v[8:9], v[10:11] offset1:15
	v_fmac_f32_e32 v6, 0xbf5db3d7, v17
	v_fmac_f32_e32 v7, 0x3f5db3d7, v18
	v_add_f32_e32 v8, v77, v79
	v_add_f32_e32 v9, v75, v78
	ds_write_b64 v119, v[6:7] offset:240
	v_add_f32_e32 v6, v2, v75
	v_add_f32_e32 v7, v3, v77
	v_fma_f32 v2, -0.5, v9, v2
	v_fma_f32 v3, -0.5, v8, v3
	v_mul_u32_u24_e32 v8, 45, v39
	v_sub_f32_e32 v10, v77, v79
	v_sub_f32_e32 v11, v75, v78
	v_add_u32_sdwa v17, v8, v40 dst_sel:DWORD dst_unused:UNUSED_PAD src0_sel:DWORD src1_sel:BYTE_0
	v_mov_b32_e32 v8, v2
	v_mov_b32_e32 v9, v3
	v_add_f32_e32 v6, v6, v78
	v_add_f32_e32 v7, v7, v79
	v_fmac_f32_e32 v8, 0x3f5db3d7, v10
	v_fmac_f32_e32 v9, 0xbf5db3d7, v11
	v_lshl_add_u32 v118, v17, 3, v36
	v_fmac_f32_e32 v2, 0xbf5db3d7, v10
	v_fmac_f32_e32 v3, 0x3f5db3d7, v11
	ds_write2_b64 v118, v[6:7], v[8:9] offset1:15
	ds_write_b64 v118, v[2:3] offset:240
	v_add_f32_e32 v3, v122, v117
	v_add_f32_e32 v6, v123, v120
	;; [unrolled: 1-line block ×3, first 2 shown]
	v_fma_f32 v4, -0.5, v3, v4
	v_add_f32_e32 v3, v5, v123
	v_fmac_f32_e32 v5, -0.5, v6
	v_mul_u32_u24_e32 v6, 45, v41
	v_sub_f32_e32 v8, v123, v120
	v_sub_f32_e32 v9, v122, v117
	v_add_u32_sdwa v10, v6, v42 dst_sel:DWORD dst_unused:UNUSED_PAD src0_sel:DWORD src1_sel:BYTE_0
	v_mov_b32_e32 v6, v4
	v_mov_b32_e32 v7, v5
	v_add_f32_e32 v2, v2, v117
	v_add_f32_e32 v3, v3, v120
	v_fmac_f32_e32 v6, 0x3f5db3d7, v8
	v_fmac_f32_e32 v7, 0xbf5db3d7, v9
	v_lshl_add_u32 v117, v10, 3, v36
	ds_write2_b64 v117, v[2:3], v[6:7] offset1:15
	v_fmac_f32_e32 v4, 0xbf5db3d7, v8
	v_fmac_f32_e32 v5, 0x3f5db3d7, v9
	v_mul_f32_e32 v2, v29, v47
	ds_write_b64 v117, v[4:5] offset:240
	v_fma_f32 v4, v28, v46, -v2
	v_mul_f32_e32 v5, v28, v47
	v_add_f32_e32 v3, v124, v4
	v_fmac_f32_e32 v5, v29, v46
	v_add_f32_e32 v2, v0, v124
	v_fma_f32 v0, -0.5, v3, v0
	v_add_f32_e32 v3, v1, v125
	v_add_f32_e32 v2, v2, v4
	;; [unrolled: 1-line block ×3, first 2 shown]
	v_sub_f32_e32 v6, v125, v5
	v_add_f32_e32 v5, v125, v5
	v_sub_f32_e32 v7, v124, v4
	v_mul_u32_u24_e32 v4, 45, v43
	v_fmac_f32_e32 v1, -0.5, v5
	v_add_u32_sdwa v8, v4, v49 dst_sel:DWORD dst_unused:UNUSED_PAD src0_sel:DWORD src1_sel:BYTE_0
	v_mov_b32_e32 v4, v0
	v_mov_b32_e32 v5, v1
	v_lshl_add_u32 v120, v8, 3, v36
	v_fmac_f32_e32 v0, 0xbf5db3d7, v6
	v_fmac_f32_e32 v1, 0x3f5db3d7, v7
	ds_write_b64 v120, v[0:1] offset:240
	v_add_co_u32_e32 v0, vcc, s12, v113
	v_addc_co_u32_e64 v1, s[12:13], 0, -1, vcc
	v_cmp_gt_u16_e32 vcc, 18, v113
	v_fmac_f32_e32 v4, 0x3f5db3d7, v6
	v_fmac_f32_e32 v5, 0xbf5db3d7, v7
	v_cndmask_b32_e32 v50, v1, v30, vcc
	v_cndmask_b32_e32 v49, v0, v37, vcc
	ds_write2_b64 v120, v[2:3], v[4:5] offset1:15
	v_lshlrev_b64 v[4:5], 4, v[49:50]
	v_lshlrev_b32_e32 v75, 4, v113
	v_add_co_u32_e32 v17, vcc, s10, v4
	v_addc_co_u32_e32 v18, vcc, v19, v5, vcc
	s_movk_i32 s12, 0x6d
	s_waitcnt lgkmcnt(0)
	s_barrier
	global_load_dwordx4 v[0:3], v75, s[10:11] offset:320
	global_load_dwordx4 v[4:7], v[17:18], off offset:320
	global_load_dwordx4 v[8:11], v75, s[10:11] offset:464
	v_mul_lo_u16_sdwa v17, v72, s12 dst_sel:DWORD dst_unused:UNUSED_PAD src0_sel:BYTE_0 src1_sel:DWORD
	v_sub_u16_sdwa v18, v72, v17 dst_sel:DWORD dst_unused:UNUSED_PAD src0_sel:DWORD src1_sel:BYTE_1
	v_lshrrev_b16_e32 v18, 1, v18
	v_mul_lo_u16_sdwa v28, v76, s12 dst_sel:DWORD dst_unused:UNUSED_PAD src0_sel:BYTE_0 src1_sel:DWORD
	v_and_b32_e32 v18, 0x7f, v18
	v_sub_u16_sdwa v29, v76, v28 dst_sel:DWORD dst_unused:UNUSED_PAD src0_sel:DWORD src1_sel:BYTE_1
	v_add_u16_sdwa v17, v18, v17 dst_sel:DWORD dst_unused:UNUSED_PAD src0_sel:DWORD src1_sel:BYTE_1
	v_lshrrev_b16_e32 v29, 1, v29
	v_lshrrev_b16_e32 v79, 5, v17
	v_and_b32_e32 v29, 0x7f, v29
	v_mul_lo_u16_e32 v17, 45, v79
	v_add_u16_sdwa v28, v29, v28 dst_sel:DWORD dst_unused:UNUSED_PAD src0_sel:DWORD src1_sel:BYTE_1
	v_sub_u16_e32 v135, v72, v17
	v_lshrrev_b16_e32 v28, 5, v28
	v_lshlrev_b32_sdwa v16, v16, v135 dst_sel:DWORD dst_unused:UNUSED_PAD src0_sel:DWORD src1_sel:BYTE_0
	v_mul_lo_u16_e32 v28, 45, v28
	global_load_dwordx4 v[16:19], v16, s[10:11] offset:320
	v_sub_u16_e32 v28, v76, v28
	v_and_b32_e32 v136, 0xff, v28
	v_lshlrev_b32_e32 v28, 4, v136
	global_load_dwordx4 v[28:31], v28, s[10:11] offset:320
	ds_read2_b64 v[38:41], v114 offset0:14 offset1:41
	ds_read2_b64 v[122:125], v112 offset0:162 offset1:189
	v_cmp_lt_u16_e32 vcc, 17, v113
	v_lshlrev_b32_e32 v72, 4, v72
	v_lshlrev_b32_e32 v76, 4, v76
	s_waitcnt vmcnt(4) lgkmcnt(1)
	v_mul_f32_e32 v42, v39, v3
	v_fma_f32 v42, v38, v2, -v42
	v_mul_f32_e32 v43, v38, v3
	s_waitcnt vmcnt(3)
	v_mul_f32_e32 v38, v41, v7
	v_fma_f32 v137, v40, v6, -v38
	v_mul_f32_e32 v138, v40, v7
	s_waitcnt lgkmcnt(0)
	v_mul_f32_e32 v38, v123, v5
	v_fmac_f32_e32 v43, v39, v2
	v_fmac_f32_e32 v138, v41, v6
	v_fma_f32 v139, v122, v4, -v38
	ds_read2_b64 v[38:41], v114 offset0:68 offset1:95
	v_mul_f32_e32 v140, v122, v5
	s_waitcnt vmcnt(2)
	v_mul_f32_e32 v50, v125, v9
	v_mul_f32_e32 v142, v124, v9
	v_fmac_f32_e32 v140, v123, v4
	v_fma_f32 v141, v124, v8, -v50
	v_fmac_f32_e32 v142, v125, v8
	ds_read2_b64 v[122:125], v112 offset0:216 offset1:243
	s_waitcnt lgkmcnt(1)
	v_mul_f32_e32 v50, v39, v11
	v_fma_f32 v143, v38, v10, -v50
	v_mul_f32_e32 v144, v38, v11
	s_waitcnt vmcnt(1)
	v_mul_f32_e32 v38, v41, v19
	v_fma_f32 v145, v40, v18, -v38
	v_mul_f32_e32 v146, v40, v19
	s_waitcnt lgkmcnt(0)
	v_mul_f32_e32 v38, v123, v17
	v_fmac_f32_e32 v144, v39, v10
	v_fmac_f32_e32 v146, v41, v18
	v_fma_f32 v147, v122, v16, -v38
	ds_read2_b64 v[38:41], v112 offset0:108 offset1:135
	v_mul_f32_e32 v148, v122, v17
	s_waitcnt vmcnt(0)
	v_mul_f32_e32 v50, v125, v29
	v_mul_f32_e32 v150, v124, v29
	v_fmac_f32_e32 v148, v123, v16
	v_fma_f32 v149, v124, v28, -v50
	v_fmac_f32_e32 v150, v125, v28
	ds_read2_b64 v[122:125], v112 offset1:27
	s_waitcnt lgkmcnt(1)
	v_mul_f32_e32 v50, v41, v1
	v_fma_f32 v77, v40, v0, -v50
	v_mul_f32_e32 v40, v40, v1
	v_fmac_f32_e32 v40, v41, v0
	s_waitcnt lgkmcnt(0)
	v_add_f32_e32 v41, v122, v77
	v_add_f32_e32 v50, v41, v42
	;; [unrolled: 1-line block ×4, first 2 shown]
	v_sub_f32_e32 v151, v40, v43
	v_add_f32_e32 v40, v40, v43
	v_add_f32_e32 v41, v77, v42
	v_fma_f32 v73, -0.5, v41, v122
	v_fma_f32 v74, -0.5, v40, v123
	v_sub_f32_e32 v122, v77, v42
	v_mov_b32_e32 v77, v73
	v_mov_b32_e32 v78, v74
	v_fmac_f32_e32 v77, 0x3f5db3d7, v151
	v_fmac_f32_e32 v78, 0xbf5db3d7, v122
	ds_read_b64 v[133:134], v112 offset:3024
	ds_read2_b64 v[40:43], v112 offset0:54 offset1:81
	s_waitcnt lgkmcnt(0)
	s_barrier
	ds_write2_b64 v112, v[50:51], v[77:78] offset1:45
	v_mov_b32_e32 v50, 0x87
	v_fmac_f32_e32 v73, 0xbf5db3d7, v151
	v_fmac_f32_e32 v74, 0x3f5db3d7, v122
	v_cndmask_b32_e32 v50, 0, v50, vcc
	ds_write_b64 v112, v[73:74] offset:720
	v_add_u32_e32 v51, v49, v50
	v_add_f32_e32 v50, v139, v137
	v_add_f32_e32 v73, v140, v138
	;; [unrolled: 1-line block ×3, first 2 shown]
	v_fma_f32 v124, -0.5, v50, v124
	v_add_f32_e32 v50, v125, v140
	v_fmac_f32_e32 v125, -0.5, v73
	v_sub_f32_e32 v77, v140, v138
	v_sub_f32_e32 v78, v139, v137
	v_mov_b32_e32 v73, v124
	v_mov_b32_e32 v74, v125
	v_add_f32_e32 v49, v49, v137
	v_add_f32_e32 v50, v50, v138
	v_fmac_f32_e32 v73, 0x3f5db3d7, v77
	v_fmac_f32_e32 v74, 0xbf5db3d7, v78
	v_lshl_add_u32 v123, v51, 3, v36
	ds_write2_b64 v123, v[49:50], v[73:74] offset1:45
	v_add_f32_e32 v73, v142, v144
	v_add_f32_e32 v74, v141, v143
	v_add_f32_e32 v49, v40, v141
	v_add_f32_e32 v50, v41, v142
	v_fma_f32 v40, -0.5, v74, v40
	v_fma_f32 v41, -0.5, v73, v41
	v_fmac_f32_e32 v124, 0xbf5db3d7, v77
	v_sub_f32_e32 v51, v142, v144
	v_sub_f32_e32 v77, v141, v143
	v_mov_b32_e32 v73, v40
	v_mov_b32_e32 v74, v41
	v_fmac_f32_e32 v125, 0x3f5db3d7, v78
	v_add_f32_e32 v49, v49, v143
	v_add_f32_e32 v50, v50, v144
	v_fmac_f32_e32 v73, 0x3f5db3d7, v51
	v_fmac_f32_e32 v74, 0xbf5db3d7, v77
	;; [unrolled: 1-line block ×4, first 2 shown]
	ds_write_b64 v123, v[124:125] offset:720
	ds_write2_b64 v112, v[49:50], v[73:74] offset0:144 offset1:189
	ds_write_b64 v112, v[40:41] offset:1872
	v_add_f32_e32 v41, v147, v145
	v_add_f32_e32 v49, v148, v146
	;; [unrolled: 1-line block ×3, first 2 shown]
	v_fma_f32 v42, -0.5, v41, v42
	v_add_f32_e32 v41, v43, v148
	v_fmac_f32_e32 v43, -0.5, v49
	v_mul_u32_u24_e32 v49, 0x87, v79
	v_sub_f32_e32 v51, v148, v146
	v_sub_f32_e32 v73, v147, v145
	v_add_u32_sdwa v74, v49, v135 dst_sel:DWORD dst_unused:UNUSED_PAD src0_sel:DWORD src1_sel:BYTE_0
	v_mov_b32_e32 v49, v42
	v_mov_b32_e32 v50, v43
	v_add_f32_e32 v40, v40, v145
	v_add_f32_e32 v41, v41, v146
	v_fmac_f32_e32 v49, 0x3f5db3d7, v51
	v_fmac_f32_e32 v50, 0xbf5db3d7, v73
	v_lshl_add_u32 v122, v74, 3, v36
	ds_write2_b64 v122, v[40:41], v[49:50] offset1:45
	v_fmac_f32_e32 v42, 0xbf5db3d7, v51
	v_fmac_f32_e32 v43, 0x3f5db3d7, v73
	v_mul_f32_e32 v40, v134, v31
	ds_write_b64 v122, v[42:43] offset:720
	v_fma_f32 v42, v133, v30, -v40
	v_mul_f32_e32 v43, v133, v31
	v_add_f32_e32 v41, v149, v42
	v_fmac_f32_e32 v43, v134, v30
	v_add_f32_e32 v40, v38, v149
	v_fma_f32 v38, -0.5, v41, v38
	v_add_f32_e32 v41, v39, v150
	v_add_f32_e32 v41, v41, v43
	v_sub_f32_e32 v49, v150, v43
	v_add_f32_e32 v43, v150, v43
	v_fmac_f32_e32 v39, -0.5, v43
	v_add_f32_e32 v40, v40, v42
	v_sub_f32_e32 v50, v149, v42
	v_lshl_add_u32 v124, v136, 3, v36
	v_mov_b32_e32 v42, v38
	v_mov_b32_e32 v43, v39
	v_fmac_f32_e32 v42, 0x3f5db3d7, v49
	v_fmac_f32_e32 v43, 0xbf5db3d7, v50
	v_add_u32_e32 v125, 0x800, v124
	v_fmac_f32_e32 v38, 0xbf5db3d7, v49
	v_fmac_f32_e32 v39, 0x3f5db3d7, v50
	ds_write2_b64 v125, v[40:41], v[42:43] offset0:14 offset1:59
	ds_write_b64 v124, v[38:39] offset:2880
	s_waitcnt lgkmcnt(0)
	s_barrier
	global_load_dwordx4 v[40:43], v75, s[10:11] offset:1040
	v_lshlrev_b32_e32 v36, 4, v37
	global_load_dwordx4 v[36:39], v36, s[10:11] offset:1040
	ds_read2_b64 v[133:136], v114 offset0:14 offset1:41
	global_load_dwordx4 v[48:51], v48, s[10:11] offset:1040
	ds_read2_b64 v[137:140], v112 offset0:162 offset1:189
	global_load_dwordx4 v[72:75], v72, s[10:11] offset:1040
	s_waitcnt vmcnt(3) lgkmcnt(1)
	v_mul_f32_e32 v77, v134, v43
	v_fma_f32 v141, v133, v42, -v77
	global_load_dwordx4 v[76:79], v76, s[10:11] offset:1040
	v_mul_f32_e32 v142, v133, v43
	s_waitcnt vmcnt(3)
	v_mul_f32_e32 v133, v136, v39
	v_fma_f32 v155, v135, v38, -v133
	v_mul_f32_e32 v156, v135, v39
	s_waitcnt lgkmcnt(0)
	v_mul_f32_e32 v133, v138, v37
	v_fmac_f32_e32 v142, v134, v42
	v_fmac_f32_e32 v156, v136, v38
	v_fma_f32 v157, v137, v36, -v133
	ds_read2_b64 v[133:136], v112 offset0:108 offset1:135
	v_mul_f32_e32 v158, v137, v37
	s_waitcnt vmcnt(2)
	v_mul_f32_e32 v137, v140, v49
	v_mul_f32_e32 v160, v139, v49
	v_fmac_f32_e32 v158, v138, v36
	v_fma_f32 v159, v139, v48, -v137
	v_fmac_f32_e32 v160, v140, v48
	ds_read2_b64 v[137:140], v112 offset1:27
	s_waitcnt lgkmcnt(1)
	v_mul_f32_e32 v143, v136, v41
	v_fma_f32 v143, v135, v40, -v143
	v_mul_f32_e32 v135, v135, v41
	v_fmac_f32_e32 v135, v136, v40
	s_waitcnt lgkmcnt(0)
	v_add_f32_e32 v136, v137, v143
	v_add_f32_e32 v149, v136, v141
	;; [unrolled: 1-line block ×4, first 2 shown]
	v_sub_f32_e32 v161, v135, v142
	v_add_f32_e32 v135, v135, v142
	v_add_f32_e32 v136, v143, v141
	v_fma_f32 v151, -0.5, v136, v137
	v_fma_f32 v152, -0.5, v135, v138
	v_sub_f32_e32 v162, v143, v141
	v_mov_b32_e32 v153, v151
	v_mov_b32_e32 v154, v152
	v_fmac_f32_e32 v151, 0xbf5db3d7, v161
	v_fmac_f32_e32 v152, 0x3f5db3d7, v162
	ds_read2_b64 v[135:138], v112 offset0:54 offset1:81
	ds_read2_b64 v[141:144], v114 offset0:68 offset1:95
	;; [unrolled: 1-line block ×3, first 2 shown]
	ds_write_b64 v112, v[151:152] offset:2160
	v_add_f32_e32 v151, v139, v157
	v_add_f32_e32 v152, v140, v158
	v_fmac_f32_e32 v153, 0x3f5db3d7, v161
	v_fmac_f32_e32 v154, 0xbf5db3d7, v162
	v_add_f32_e32 v151, v151, v155
	v_add_f32_e32 v152, v152, v156
	ds_write_b64 v112, v[153:154] offset:1080
	ds_read_b64 v[153:154], v112 offset:3024
	ds_write2_b64 v112, v[149:150], v[151:152] offset1:27
	v_add_f32_e32 v149, v157, v155
	v_fma_f32 v139, -0.5, v149, v139
	v_add_f32_e32 v149, v158, v156
	v_fmac_f32_e32 v140, -0.5, v149
	v_sub_f32_e32 v155, v157, v155
	s_waitcnt lgkmcnt(5)
	v_mul_f32_e32 v149, v142, v51
	v_mul_f32_e32 v157, v141, v51
	v_sub_f32_e32 v161, v158, v156
	v_fma_f32 v156, v141, v50, -v149
	v_fmac_f32_e32 v157, v142, v50
	v_add_f32_e32 v141, v159, v156
	v_add_f32_e32 v142, v160, v157
	v_fma_f32 v141, -0.5, v141, v135
	v_fma_f32 v142, -0.5, v142, v136
	v_sub_f32_e32 v158, v160, v157
	v_sub_f32_e32 v162, v159, v156
	v_mov_b32_e32 v149, v139
	v_fmac_f32_e32 v139, 0xbf5db3d7, v161
	v_mov_b32_e32 v150, v140
	v_fmac_f32_e32 v140, 0x3f5db3d7, v155
	;; [unrolled: 2-line block ×4, first 2 shown]
	ds_write2_b64 v114, v[139:140], v[141:142] offset0:41 offset1:68
	s_waitcnt vmcnt(1)
	v_mul_f32_e32 v139, v144, v75
	v_mul_f32_e32 v142, v143, v75
	v_fma_f32 v141, v143, v74, -v139
	v_fmac_f32_e32 v142, v144, v74
	s_waitcnt lgkmcnt(5)
	v_mul_f32_e32 v139, v146, v73
	v_mul_f32_e32 v144, v145, v73
	v_fma_f32 v143, v145, v72, -v139
	v_fmac_f32_e32 v144, v146, v72
	v_add_f32_e32 v135, v135, v159
	s_waitcnt vmcnt(0)
	v_mul_f32_e32 v139, v148, v77
	v_fma_f32 v145, v147, v76, -v139
	v_add_f32_e32 v136, v136, v160
	v_add_f32_e32 v139, v137, v143
	;; [unrolled: 1-line block ×3, first 2 shown]
	v_fmac_f32_e32 v149, 0x3f5db3d7, v161
	v_fmac_f32_e32 v150, 0xbf5db3d7, v155
	;; [unrolled: 1-line block ×4, first 2 shown]
	v_add_f32_e32 v135, v135, v156
	v_add_f32_e32 v136, v136, v157
	;; [unrolled: 1-line block ×4, first 2 shown]
	ds_write2_b64 v112, v[149:150], v[151:152] offset0:162 offset1:189
	ds_write2_b64 v112, v[135:136], v[139:140] offset0:54 offset1:81
	v_add_f32_e32 v135, v143, v141
	v_fma_f32 v137, -0.5, v135, v137
	v_add_f32_e32 v135, v144, v142
	v_sub_f32_e32 v139, v144, v142
	v_fmac_f32_e32 v138, -0.5, v135
	v_sub_f32_e32 v140, v143, v141
	v_mul_f32_e32 v146, v147, v77
	v_mov_b32_e32 v135, v137
	v_fmac_f32_e32 v137, 0xbf5db3d7, v139
	v_mov_b32_e32 v136, v138
	v_fmac_f32_e32 v138, 0x3f5db3d7, v140
	v_fmac_f32_e32 v146, v148, v76
	ds_write_b64 v112, v[137:138] offset:2808
	s_waitcnt lgkmcnt(5)
	v_mul_f32_e32 v137, v154, v79
	v_mul_f32_e32 v142, v153, v79
	v_fma_f32 v141, v153, v78, -v137
	v_fmac_f32_e32 v142, v154, v78
	v_add_f32_e32 v137, v133, v145
	v_add_f32_e32 v138, v134, v146
	;; [unrolled: 1-line block ×4, first 2 shown]
	ds_write_b64 v112, v[137:138] offset:864
	v_add_f32_e32 v137, v145, v141
	v_fma_f32 v133, -0.5, v137, v133
	v_add_f32_e32 v137, v146, v142
	v_fmac_f32_e32 v134, -0.5, v137
	v_fmac_f32_e32 v135, 0x3f5db3d7, v139
	v_fmac_f32_e32 v136, 0xbf5db3d7, v140
	v_sub_f32_e32 v139, v146, v142
	v_sub_f32_e32 v140, v145, v141
	v_mov_b32_e32 v137, v133
	v_mov_b32_e32 v138, v134
	v_fmac_f32_e32 v137, 0x3f5db3d7, v139
	v_fmac_f32_e32 v138, 0xbf5db3d7, v140
	;; [unrolled: 1-line block ×4, first 2 shown]
	ds_write2_b64 v112, v[135:136], v[137:138] offset0:216 offset1:243
	ds_write_b64 v112, v[133:134] offset:3024
	s_waitcnt lgkmcnt(0)
	s_barrier
	global_load_dwordx2 v[137:138], v115, s[8:9] offset:3240
	global_load_dwordx2 v[141:142], v115, s[6:7] offset:216
	;; [unrolled: 1-line block ×15, first 2 shown]
	ds_read2_b64 v[133:136], v112 offset1:27
	s_waitcnt vmcnt(14) lgkmcnt(0)
	v_mul_f32_e32 v115, v134, v138
	v_mul_f32_e32 v170, v133, v138
	v_fma_f32 v169, v133, v137, -v115
	v_fmac_f32_e32 v170, v134, v137
	ds_read2_b64 v[137:140], v112 offset0:162 offset1:189
	s_waitcnt vmcnt(13)
	v_mul_f32_e32 v115, v136, v142
	v_mul_f32_e32 v172, v135, v142
	v_fma_f32 v171, v135, v141, -v115
	v_fmac_f32_e32 v172, v136, v141
	ds_read2_b64 v[133:136], v114 offset0:68 offset1:95
	s_waitcnt vmcnt(12) lgkmcnt(1)
	v_mul_f32_e32 v115, v138, v144
	v_fma_f32 v141, v137, v143, -v115
	v_mul_f32_e32 v142, v137, v144
	s_waitcnt vmcnt(11)
	v_mul_f32_e32 v115, v140, v146
	v_mul_f32_e32 v144, v139, v146
	v_fmac_f32_e32 v142, v138, v143
	v_fma_f32 v143, v139, v145, -v115
	v_fmac_f32_e32 v144, v140, v145
	s_waitcnt vmcnt(10) lgkmcnt(0)
	v_mul_f32_e32 v115, v134, v148
	ds_read2_b64 v[137:140], v112 offset0:54 offset1:81
	v_fma_f32 v145, v133, v147, -v115
	v_mul_f32_e32 v146, v133, v148
	s_waitcnt vmcnt(9)
	v_mul_f32_e32 v115, v136, v150
	v_mul_f32_e32 v148, v135, v150
	v_fmac_f32_e32 v146, v134, v147
	v_fma_f32 v147, v135, v149, -v115
	v_fmac_f32_e32 v148, v136, v149
	ds_read2_b64 v[133:136], v112 offset0:108 offset1:135
	s_waitcnt vmcnt(8) lgkmcnt(1)
	v_mul_f32_e32 v115, v140, v152
	v_fma_f32 v149, v139, v151, -v115
	v_mul_f32_e32 v150, v139, v152
	s_waitcnt vmcnt(6)
	v_mul_f32_e32 v115, v138, v156
	v_mul_f32_e32 v152, v137, v156
	v_fmac_f32_e32 v150, v140, v151
	v_fma_f32 v151, v137, v155, -v115
	v_fmac_f32_e32 v152, v138, v155
	s_waitcnt lgkmcnt(0)
	v_mul_f32_e32 v115, v134, v154
	ds_read2_b64 v[137:140], v112 offset0:216 offset1:243
	v_fma_f32 v155, v133, v153, -v115
	v_mul_f32_e32 v156, v133, v154
	s_waitcnt vmcnt(4)
	v_mul_f32_e32 v115, v136, v160
	v_mul_f32_e32 v154, v135, v160
	v_fmac_f32_e32 v156, v134, v153
	v_fma_f32 v153, v135, v159, -v115
	v_fmac_f32_e32 v154, v136, v159
	ds_read2_b64 v[133:136], v114 offset0:14 offset1:41
	s_waitcnt vmcnt(3) lgkmcnt(1)
	v_mul_f32_e32 v115, v140, v162
	v_mul_f32_e32 v160, v139, v162
	v_fma_f32 v159, v139, v161, -v115
	v_fmac_f32_e32 v160, v140, v161
	v_mul_f32_e32 v115, v138, v158
	v_mul_f32_e32 v140, v137, v158
	v_fma_f32 v139, v137, v157, -v115
	v_fmac_f32_e32 v140, v138, v157
	s_waitcnt vmcnt(2) lgkmcnt(0)
	v_mul_f32_e32 v115, v134, v164
	v_mul_f32_e32 v138, v133, v164
	v_fma_f32 v137, v133, v163, -v115
	v_fmac_f32_e32 v138, v134, v163
	s_waitcnt vmcnt(1)
	v_mul_f32_e32 v115, v136, v166
	v_mul_f32_e32 v134, v135, v166
	ds_write2_b64 v112, v[169:170], v[171:172] offset1:27
	ds_write2_b64 v112, v[141:142], v[143:144] offset0:162 offset1:189
	ds_write2_b64 v114, v[145:146], v[147:148] offset0:68 offset1:95
	v_fma_f32 v133, v135, v165, -v115
	v_fmac_f32_e32 v134, v136, v165
	ds_read_b64 v[135:136], v112 offset:3024
	ds_write2_b64 v112, v[151:152], v[149:150] offset0:54 offset1:81
	ds_write2_b64 v112, v[155:156], v[153:154] offset0:108 offset1:135
	;; [unrolled: 1-line block ×4, first 2 shown]
	s_waitcnt vmcnt(0) lgkmcnt(4)
	v_mul_f32_e32 v115, v136, v168
	v_mul_f32_e32 v134, v135, v168
	v_fma_f32 v133, v135, v167, -v115
	v_fmac_f32_e32 v134, v136, v167
	ds_write_b64 v112, v[133:134] offset:3024
	s_waitcnt lgkmcnt(0)
	s_barrier
	ds_read2_b64 v[133:136], v112 offset0:54 offset1:81
	ds_read2_b64 v[137:140], v112 offset0:162 offset1:189
	;; [unrolled: 1-line block ×4, first 2 shown]
	ds_read2_b64 v[149:152], v112 offset1:27
	s_waitcnt lgkmcnt(3)
	v_sub_f32_e32 v115, v135, v137
	s_waitcnt lgkmcnt(2)
	v_sub_f32_e32 v173, v137, v143
	;; [unrolled: 2-line block ×3, first 2 shown]
	v_add_f32_e32 v115, v115, v153
	s_waitcnt lgkmcnt(0)
	v_add_f32_e32 v153, v149, v135
	v_add_f32_e32 v153, v153, v137
	;; [unrolled: 1-line block ×5, first 2 shown]
	v_sub_f32_e32 v172, v135, v145
	v_sub_f32_e32 v137, v137, v135
	v_add_f32_e32 v135, v135, v145
	v_fma_f32 v163, -0.5, v153, v149
	v_fma_f32 v149, -0.5, v135, v149
	v_add_f32_e32 v154, v150, v136
	v_sub_f32_e32 v171, v138, v144
	v_mov_b32_e32 v135, v149
	v_add_f32_e32 v154, v154, v138
	v_sub_f32_e32 v170, v136, v146
	v_sub_f32_e32 v143, v143, v145
	v_fmac_f32_e32 v135, 0x3f737871, v171
	v_fmac_f32_e32 v149, 0xbf737871, v171
	v_add_f32_e32 v154, v154, v144
	v_add_f32_e32 v153, v138, v144
	;; [unrolled: 1-line block ×3, first 2 shown]
	v_fmac_f32_e32 v135, 0xbf167918, v170
	v_fmac_f32_e32 v149, 0x3f167918, v170
	v_add_f32_e32 v162, v154, v146
	v_fma_f32 v164, -0.5, v153, v150
	v_sub_f32_e32 v153, v136, v138
	v_sub_f32_e32 v154, v146, v144
	v_fmac_f32_e32 v135, 0x3e9e377a, v137
	v_fmac_f32_e32 v149, 0x3e9e377a, v137
	v_add_f32_e32 v137, v136, v146
	v_add_f32_e32 v169, v153, v154
	ds_read_b64 v[167:168], v112 offset:3024
	ds_read2_b64 v[153:156], v112 offset0:108 offset1:135
	ds_read2_b64 v[157:160], v114 offset0:14 offset1:41
	v_fma_f32 v150, -0.5, v137, v150
	v_sub_f32_e32 v136, v138, v136
	v_sub_f32_e32 v137, v144, v146
	v_mov_b32_e32 v165, v163
	v_mov_b32_e32 v166, v164
	v_add_f32_e32 v137, v136, v137
	v_mov_b32_e32 v136, v150
	v_fmac_f32_e32 v165, 0xbf737871, v170
	v_fmac_f32_e32 v166, 0x3f737871, v172
	;; [unrolled: 1-line block ×18, first 2 shown]
	s_waitcnt lgkmcnt(0)
	s_barrier
	ds_write2_b64 v116, v[161:162], v[165:166] offset1:1
	ds_write2_b64 v116, v[135:136], v[149:150] offset0:2 offset1:3
	ds_write_b64 v116, v[163:164] offset:32
	v_add_f32_e32 v115, v139, v157
	v_add_f32_e32 v116, v153, v147
	;; [unrolled: 1-line block ×3, first 2 shown]
	v_fma_f32 v115, -0.5, v115, v151
	v_fma_f32 v151, -0.5, v116, v151
	v_sub_f32_e32 v116, v139, v153
	v_sub_f32_e32 v135, v157, v147
	v_add_f32_e32 v116, v116, v135
	v_sub_f32_e32 v143, v140, v158
	v_mov_b32_e32 v135, v151
	v_fmac_f32_e32 v135, 0x3f737871, v143
	v_sub_f32_e32 v144, v154, v148
	v_fmac_f32_e32 v151, 0xbf737871, v143
	v_fmac_f32_e32 v135, 0xbf167918, v144
	;; [unrolled: 1-line block ×5, first 2 shown]
	v_add_f32_e32 v116, v140, v158
	v_add_f32_e32 v136, v154, v148
	v_fma_f32 v116, -0.5, v116, v152
	v_add_f32_e32 v138, v152, v154
	v_fmac_f32_e32 v152, -0.5, v136
	v_sub_f32_e32 v136, v140, v154
	v_sub_f32_e32 v145, v158, v148
	v_add_f32_e32 v145, v136, v145
	v_mov_b32_e32 v136, v152
	v_sub_f32_e32 v146, v139, v157
	v_fmac_f32_e32 v136, 0xbf737871, v146
	v_sub_f32_e32 v149, v153, v147
	v_fmac_f32_e32 v152, 0x3f737871, v146
	v_fmac_f32_e32 v136, 0x3f167918, v149
	;; [unrolled: 1-line block ×5, first 2 shown]
	ds_write2_b64 v132, v[135:136], v[151:152] offset0:2 offset1:3
	v_add_f32_e32 v135, v137, v139
	v_add_f32_e32 v136, v138, v140
	v_sub_f32_e32 v137, v153, v139
	v_sub_f32_e32 v138, v154, v140
	;; [unrolled: 1-line block ×4, first 2 shown]
	v_add_f32_e32 v139, v137, v139
	v_add_f32_e32 v140, v138, v140
	v_mov_b32_e32 v137, v115
	v_mov_b32_e32 v138, v116
	v_fmac_f32_e32 v137, 0xbf737871, v144
	v_fmac_f32_e32 v138, 0x3f737871, v149
	v_add_f32_e32 v135, v135, v157
	v_add_f32_e32 v136, v136, v158
	v_fmac_f32_e32 v137, 0xbf167918, v143
	v_fmac_f32_e32 v138, 0x3f167918, v146
	;; [unrolled: 1-line block ×4, first 2 shown]
	v_add_f32_e32 v135, v135, v147
	v_add_f32_e32 v136, v136, v148
	v_fmac_f32_e32 v137, 0x3e9e377a, v139
	v_fmac_f32_e32 v138, 0x3e9e377a, v140
	;; [unrolled: 1-line block ×4, first 2 shown]
	ds_write2_b64 v132, v[135:136], v[137:138] offset1:1
	v_add_f32_e32 v137, v141, v159
	v_add_f32_e32 v148, v142, v160
	v_fmac_f32_e32 v115, 0x3e9e377a, v139
	v_fmac_f32_e32 v116, 0x3e9e377a, v140
	v_add_f32_e32 v135, v133, v155
	v_sub_f32_e32 v138, v155, v141
	v_sub_f32_e32 v147, v141, v155
	v_add_f32_e32 v152, v155, v167
	v_sub_f32_e32 v153, v155, v167
	v_sub_f32_e32 v155, v167, v159
	ds_write_b64 v132, v[115:116] offset:32
	v_fma_f32 v115, -0.5, v137, v133
	v_fma_f32 v116, -0.5, v148, v134
	v_add_f32_e32 v136, v134, v156
	v_sub_f32_e32 v151, v156, v168
	v_add_f32_e32 v139, v138, v155
	v_mov_b32_e32 v137, v115
	v_mov_b32_e32 v138, v116
	v_add_f32_e32 v135, v135, v141
	v_add_f32_e32 v136, v136, v142
	v_sub_f32_e32 v145, v142, v160
	v_sub_f32_e32 v141, v141, v159
	;; [unrolled: 1-line block ×4, first 2 shown]
	v_fmac_f32_e32 v137, 0xbf737871, v151
	v_fmac_f32_e32 v138, 0x3f737871, v153
	v_add_f32_e32 v154, v156, v168
	v_add_f32_e32 v135, v135, v159
	;; [unrolled: 1-line block ×4, first 2 shown]
	v_fmac_f32_e32 v137, 0xbf167918, v145
	v_fmac_f32_e32 v138, 0x3f167918, v141
	v_add_f32_e32 v135, v135, v167
	v_add_f32_e32 v136, v136, v168
	v_fmac_f32_e32 v137, 0x3e9e377a, v139
	v_fmac_f32_e32 v138, 0x3e9e377a, v140
	v_fmac_f32_e32 v134, -0.5, v154
	v_sub_f32_e32 v142, v142, v156
	v_sub_f32_e32 v158, v160, v168
	ds_write2_b64 v131, v[135:136], v[137:138] offset1:1
	v_mov_b32_e32 v135, v134
	v_fmac_f32_e32 v134, 0x3f737871, v141
	v_add_f32_e32 v136, v142, v158
	v_fmac_f32_e32 v134, 0xbf167918, v153
	v_fmac_f32_e32 v134, 0x3e9e377a, v136
	v_fma_f32 v132, -0.5, v152, v133
	v_mov_b32_e32 v133, v134
	v_mov_b32_e32 v134, v132
	v_sub_f32_e32 v156, v159, v167
	v_fmac_f32_e32 v134, 0x3f737871, v145
	v_fmac_f32_e32 v132, 0xbf737871, v145
	;; [unrolled: 1-line block ×5, first 2 shown]
	v_add_f32_e32 v137, v147, v156
	v_fmac_f32_e32 v134, 0xbf167918, v151
	v_fmac_f32_e32 v132, 0x3f167918, v151
	;; [unrolled: 1-line block ×10, first 2 shown]
	ds_write2_b64 v131, v[134:135], v[132:133] offset0:2 offset1:3
	ds_write_b64 v131, v[115:116] offset:32
	s_waitcnt lgkmcnt(0)
	s_barrier
	ds_read_b64 v[115:116], v112 offset:3024
	ds_read2_b64 v[131:134], v112 offset0:216 offset1:243
	s_waitcnt lgkmcnt(1)
	v_mul_f32_e32 v135, v71, v116
	v_mul_f32_e32 v71, v71, v115
	v_fmac_f32_e32 v135, v70, v115
	v_fma_f32 v115, v70, v116, -v71
	s_waitcnt lgkmcnt(0)
	v_mul_f32_e32 v116, v69, v134
	v_mul_f32_e32 v69, v69, v133
	v_fmac_f32_e32 v116, v68, v133
	v_fma_f32 v133, v68, v134, -v69
	ds_read2_b64 v[68:71], v114 offset0:68 offset1:95
	v_mul_f32_e32 v134, v65, v132
	v_mul_f32_e32 v65, v65, v131
	v_fmac_f32_e32 v134, v64, v131
	v_fma_f32 v131, v64, v132, -v65
	s_waitcnt lgkmcnt(0)
	v_mul_f32_e32 v132, v67, v71
	v_mul_f32_e32 v64, v67, v70
	v_fmac_f32_e32 v132, v66, v70
	v_fma_f32 v70, v66, v71, -v64
	ds_read2_b64 v[64:67], v112 offset0:162 offset1:189
	;; [unrolled: 10-line block ×4, first 2 shown]
	v_mul_f32_e32 v64, v55, v61
	v_mul_f32_e32 v55, v55, v60
	v_fmac_f32_e32 v64, v54, v60
	v_fma_f32 v54, v54, v61, -v55
	ds_read2_b64 v[60:63], v112 offset1:27
	s_waitcnt lgkmcnt(1)
	v_mul_f32_e32 v55, v53, v59
	v_fmac_f32_e32 v55, v52, v58
	v_mul_f32_e32 v53, v53, v58
	v_fma_f32 v52, v52, v59, -v53
	s_waitcnt lgkmcnt(0)
	v_add_f32_e32 v53, v60, v55
	v_add_f32_e32 v58, v53, v64
	;; [unrolled: 1-line block ×4, first 2 shown]
	v_sub_f32_e32 v139, v52, v54
	v_add_f32_e32 v52, v52, v54
	v_add_f32_e32 v53, v55, v64
	v_fma_f32 v60, -0.5, v53, v60
	v_fma_f32 v61, -0.5, v52, v61
	v_sub_f32_e32 v140, v55, v64
	v_mov_b32_e32 v64, v60
	v_mov_b32_e32 v65, v61
	v_fmac_f32_e32 v64, 0xbf5db3d7, v139
	v_fmac_f32_e32 v65, 0x3f5db3d7, v140
	v_fmac_f32_e32 v60, 0x3f5db3d7, v139
	v_fmac_f32_e32 v61, 0xbf5db3d7, v140
	ds_read2_b64 v[52:55], v112 offset0:54 offset1:81
	s_waitcnt lgkmcnt(0)
	s_barrier
	ds_write2_b64 v130, v[58:59], v[64:65] offset1:5
	ds_write_b64 v130, v[60:61] offset:80
	v_add_f32_e32 v59, v67, v137
	v_add_f32_e32 v60, v136, v138
	;; [unrolled: 1-line block ×3, first 2 shown]
	v_fma_f32 v62, -0.5, v59, v62
	v_add_f32_e32 v59, v63, v136
	v_fmac_f32_e32 v63, -0.5, v60
	v_sub_f32_e32 v64, v136, v138
	v_sub_f32_e32 v65, v67, v137
	v_mov_b32_e32 v60, v62
	v_mov_b32_e32 v61, v63
	v_add_f32_e32 v58, v58, v137
	v_add_f32_e32 v59, v59, v138
	v_fmac_f32_e32 v60, 0xbf5db3d7, v64
	v_fmac_f32_e32 v61, 0x3f5db3d7, v65
	ds_write2_b64 v129, v[58:59], v[60:61] offset1:5
	v_add_f32_e32 v60, v66, v68
	v_add_f32_e32 v61, v69, v71
	v_fmac_f32_e32 v62, 0x3f5db3d7, v64
	v_fmac_f32_e32 v63, 0xbf5db3d7, v65
	v_add_f32_e32 v58, v52, v69
	v_add_f32_e32 v59, v53, v66
	v_fma_f32 v52, -0.5, v61, v52
	v_fma_f32 v53, -0.5, v60, v53
	ds_write_b64 v129, v[62:63] offset:80
	v_sub_f32_e32 v62, v66, v68
	v_sub_f32_e32 v63, v69, v71
	v_mov_b32_e32 v60, v52
	v_mov_b32_e32 v61, v53
	v_add_f32_e32 v58, v58, v71
	v_add_f32_e32 v59, v59, v68
	v_fmac_f32_e32 v60, 0xbf5db3d7, v62
	v_fmac_f32_e32 v61, 0x3f5db3d7, v63
	;; [unrolled: 1-line block ×4, first 2 shown]
	ds_write2_b64 v127, v[58:59], v[60:61] offset1:5
	ds_write_b64 v127, v[52:53] offset:80
	v_add_f32_e32 v53, v134, v132
	v_add_f32_e32 v58, v131, v70
	v_add_f32_e32 v52, v54, v134
	v_fma_f32 v54, -0.5, v53, v54
	v_add_f32_e32 v53, v55, v131
	v_fmac_f32_e32 v55, -0.5, v58
	v_sub_f32_e32 v60, v131, v70
	v_sub_f32_e32 v61, v134, v132
	v_mov_b32_e32 v58, v54
	v_mov_b32_e32 v59, v55
	v_add_f32_e32 v52, v52, v132
	v_add_f32_e32 v53, v53, v70
	v_fmac_f32_e32 v58, 0xbf5db3d7, v60
	v_fmac_f32_e32 v59, 0x3f5db3d7, v61
	;; [unrolled: 1-line block ×4, first 2 shown]
	ds_write2_b64 v126, v[52:53], v[58:59] offset1:5
	ds_write_b64 v126, v[54:55] offset:80
	v_add_f32_e32 v53, v116, v135
	v_add_f32_e32 v54, v133, v115
	;; [unrolled: 1-line block ×3, first 2 shown]
	v_fma_f32 v56, -0.5, v53, v56
	v_add_f32_e32 v53, v57, v133
	v_fmac_f32_e32 v57, -0.5, v54
	v_sub_f32_e32 v58, v133, v115
	v_sub_f32_e32 v59, v116, v135
	v_mov_b32_e32 v54, v56
	v_mov_b32_e32 v55, v57
	v_add_f32_e32 v52, v52, v135
	v_add_f32_e32 v53, v53, v115
	v_fmac_f32_e32 v54, 0xbf5db3d7, v58
	v_fmac_f32_e32 v55, 0x3f5db3d7, v59
	;; [unrolled: 1-line block ×4, first 2 shown]
	ds_write2_b64 v128, v[52:53], v[54:55] offset1:5
	ds_write_b64 v128, v[56:57] offset:80
	s_waitcnt lgkmcnt(0)
	s_barrier
	ds_read_b64 v[56:57], v112 offset:3024
	ds_read2_b64 v[52:55], v112 offset0:216 offset1:243
	s_waitcnt lgkmcnt(1)
	v_mul_f32_e32 v58, v47, v57
	v_mul_f32_e32 v47, v47, v56
	v_fmac_f32_e32 v58, v46, v56
	v_fma_f32 v56, v46, v57, -v47
	s_waitcnt lgkmcnt(0)
	v_mul_f32_e32 v57, v45, v55
	v_mul_f32_e32 v45, v45, v54
	v_fmac_f32_e32 v57, v44, v54
	v_fma_f32 v54, v44, v55, -v45
	ds_read2_b64 v[44:47], v114 offset0:68 offset1:95
	v_mul_f32_e32 v55, v33, v53
	v_mul_f32_e32 v33, v33, v52
	v_fmac_f32_e32 v55, v32, v52
	v_fma_f32 v52, v32, v53, -v33
	s_waitcnt lgkmcnt(0)
	v_mul_f32_e32 v53, v35, v47
	v_mul_f32_e32 v32, v35, v46
	v_fmac_f32_e32 v53, v34, v46
	v_fma_f32 v46, v34, v47, -v32
	ds_read2_b64 v[32:35], v112 offset0:162 offset1:189
	;; [unrolled: 10-line block ×4, first 2 shown]
	v_mul_f32_e32 v32, v15, v25
	v_mul_f32_e32 v15, v15, v24
	v_fmac_f32_e32 v32, v14, v24
	v_fma_f32 v14, v14, v25, -v15
	ds_read2_b64 v[24:27], v112 offset1:27
	s_waitcnt lgkmcnt(1)
	v_mul_f32_e32 v15, v13, v23
	v_fmac_f32_e32 v15, v12, v22
	v_mul_f32_e32 v13, v13, v22
	v_fma_f32 v12, v12, v23, -v13
	s_waitcnt lgkmcnt(0)
	v_add_f32_e32 v13, v24, v15
	v_add_f32_e32 v22, v13, v32
	;; [unrolled: 1-line block ×4, first 2 shown]
	v_sub_f32_e32 v62, v12, v14
	v_add_f32_e32 v12, v12, v14
	v_add_f32_e32 v13, v15, v32
	v_fma_f32 v24, -0.5, v13, v24
	v_fma_f32 v25, -0.5, v12, v25
	v_sub_f32_e32 v63, v15, v32
	v_mov_b32_e32 v32, v24
	v_mov_b32_e32 v33, v25
	v_fmac_f32_e32 v32, 0xbf5db3d7, v62
	v_fmac_f32_e32 v33, 0x3f5db3d7, v63
	;; [unrolled: 1-line block ×4, first 2 shown]
	ds_read2_b64 v[12:15], v112 offset0:54 offset1:81
	s_waitcnt lgkmcnt(0)
	s_barrier
	ds_write2_b64 v121, v[22:23], v[32:33] offset1:15
	ds_write_b64 v121, v[24:25] offset:240
	v_add_f32_e32 v23, v35, v60
	v_add_f32_e32 v24, v59, v61
	v_add_f32_e32 v22, v26, v35
	v_fma_f32 v26, -0.5, v23, v26
	v_add_f32_e32 v23, v27, v59
	v_fmac_f32_e32 v27, -0.5, v24
	v_sub_f32_e32 v32, v59, v61
	v_sub_f32_e32 v33, v35, v60
	v_mov_b32_e32 v24, v26
	v_mov_b32_e32 v25, v27
	v_add_f32_e32 v22, v22, v60
	v_add_f32_e32 v23, v23, v61
	v_fmac_f32_e32 v24, 0xbf5db3d7, v32
	v_fmac_f32_e32 v25, 0x3f5db3d7, v33
	ds_write2_b64 v119, v[22:23], v[24:25] offset1:15
	v_add_f32_e32 v24, v34, v44
	v_add_f32_e32 v25, v45, v47
	v_fmac_f32_e32 v26, 0x3f5db3d7, v32
	v_fmac_f32_e32 v27, 0xbf5db3d7, v33
	v_add_f32_e32 v22, v12, v45
	v_add_f32_e32 v23, v13, v34
	v_fma_f32 v12, -0.5, v25, v12
	v_fma_f32 v13, -0.5, v24, v13
	ds_write_b64 v119, v[26:27] offset:240
	v_sub_f32_e32 v26, v34, v44
	v_sub_f32_e32 v27, v45, v47
	v_mov_b32_e32 v24, v12
	v_mov_b32_e32 v25, v13
	v_add_f32_e32 v22, v22, v47
	v_add_f32_e32 v23, v23, v44
	v_fmac_f32_e32 v24, 0xbf5db3d7, v26
	v_fmac_f32_e32 v25, 0x3f5db3d7, v27
	;; [unrolled: 1-line block ×4, first 2 shown]
	ds_write2_b64 v118, v[22:23], v[24:25] offset1:15
	ds_write_b64 v118, v[12:13] offset:240
	v_add_f32_e32 v13, v55, v53
	v_add_f32_e32 v22, v52, v46
	;; [unrolled: 1-line block ×3, first 2 shown]
	v_fma_f32 v14, -0.5, v13, v14
	v_add_f32_e32 v13, v15, v52
	v_fmac_f32_e32 v15, -0.5, v22
	v_sub_f32_e32 v24, v52, v46
	v_sub_f32_e32 v25, v55, v53
	v_mov_b32_e32 v22, v14
	v_mov_b32_e32 v23, v15
	v_add_f32_e32 v12, v12, v53
	v_add_f32_e32 v13, v13, v46
	v_fmac_f32_e32 v22, 0xbf5db3d7, v24
	v_fmac_f32_e32 v23, 0x3f5db3d7, v25
	;; [unrolled: 1-line block ×4, first 2 shown]
	ds_write2_b64 v117, v[12:13], v[22:23] offset1:15
	ds_write_b64 v117, v[14:15] offset:240
	v_add_f32_e32 v13, v57, v58
	v_add_f32_e32 v14, v54, v56
	;; [unrolled: 1-line block ×3, first 2 shown]
	v_fma_f32 v20, -0.5, v13, v20
	v_add_f32_e32 v13, v21, v54
	v_fmac_f32_e32 v21, -0.5, v14
	v_sub_f32_e32 v22, v54, v56
	v_sub_f32_e32 v23, v57, v58
	v_mov_b32_e32 v14, v20
	v_mov_b32_e32 v15, v21
	v_add_f32_e32 v12, v12, v58
	v_add_f32_e32 v13, v13, v56
	v_fmac_f32_e32 v14, 0xbf5db3d7, v22
	v_fmac_f32_e32 v15, 0x3f5db3d7, v23
	;; [unrolled: 1-line block ×4, first 2 shown]
	ds_write2_b64 v120, v[12:13], v[14:15] offset1:15
	ds_write_b64 v120, v[20:21] offset:240
	s_waitcnt lgkmcnt(0)
	s_barrier
	ds_read_b64 v[20:21], v112 offset:3024
	ds_read2_b64 v[12:15], v112 offset0:216 offset1:243
	s_waitcnt lgkmcnt(1)
	v_mul_f32_e32 v24, v31, v21
	v_fmac_f32_e32 v24, v30, v20
	v_mul_f32_e32 v20, v31, v20
	v_fma_f32 v25, v30, v21, -v20
	ds_read2_b64 v[20:23], v114 offset0:68 offset1:95
	s_waitcnt lgkmcnt(1)
	v_mul_f32_e32 v26, v29, v15
	v_fmac_f32_e32 v26, v28, v14
	v_mul_f32_e32 v14, v29, v14
	v_fma_f32 v27, v28, v15, -v14
	v_mul_f32_e32 v28, v17, v13
	v_fmac_f32_e32 v28, v16, v12
	v_mul_f32_e32 v12, v17, v12
	v_fma_f32 v16, v16, v13, -v12
	s_waitcnt lgkmcnt(0)
	v_mul_f32_e32 v17, v19, v23
	v_mul_f32_e32 v12, v19, v22
	v_fmac_f32_e32 v17, v18, v22
	v_fma_f32 v18, v18, v23, -v12
	ds_read2_b64 v[12:15], v112 offset0:162 offset1:189
	v_mul_f32_e32 v19, v11, v21
	v_mul_f32_e32 v11, v11, v20
	v_fmac_f32_e32 v19, v10, v20
	v_fma_f32 v20, v10, v21, -v11
	s_waitcnt lgkmcnt(0)
	v_mul_f32_e32 v21, v9, v15
	v_mul_f32_e32 v9, v9, v14
	v_fmac_f32_e32 v21, v8, v14
	v_fma_f32 v14, v8, v15, -v9
	ds_read2_b64 v[8:11], v114 offset0:14 offset1:41
	v_mul_f32_e32 v15, v5, v13
	v_mul_f32_e32 v5, v5, v12
	v_fmac_f32_e32 v15, v4, v12
	v_fma_f32 v22, v4, v13, -v5
	s_waitcnt lgkmcnt(0)
	v_mul_f32_e32 v23, v7, v11
	v_mul_f32_e32 v4, v7, v10
	v_fmac_f32_e32 v23, v6, v10
	v_fma_f32 v29, v6, v11, -v4
	ds_read2_b64 v[4:7], v112 offset0:108 offset1:135
	v_mul_f32_e32 v12, v3, v9
	v_mul_f32_e32 v3, v3, v8
	v_fmac_f32_e32 v12, v2, v8
	v_fma_f32 v2, v2, v9, -v3
	ds_read2_b64 v[8:11], v112 offset1:27
	s_waitcnt lgkmcnt(1)
	v_mul_f32_e32 v3, v1, v7
	v_fmac_f32_e32 v3, v0, v6
	v_mul_f32_e32 v1, v1, v6
	v_fma_f32 v0, v0, v7, -v1
	s_waitcnt lgkmcnt(0)
	v_add_f32_e32 v1, v8, v3
	v_add_f32_e32 v6, v1, v12
	;; [unrolled: 1-line block ×4, first 2 shown]
	v_sub_f32_e32 v30, v0, v2
	v_add_f32_e32 v0, v0, v2
	v_add_f32_e32 v1, v3, v12
	v_fma_f32 v8, -0.5, v1, v8
	v_fma_f32 v9, -0.5, v0, v9
	v_sub_f32_e32 v31, v3, v12
	v_mov_b32_e32 v12, v8
	v_mov_b32_e32 v13, v9
	v_fmac_f32_e32 v12, 0xbf5db3d7, v30
	v_fmac_f32_e32 v13, 0x3f5db3d7, v31
	;; [unrolled: 1-line block ×4, first 2 shown]
	ds_read2_b64 v[0:3], v112 offset0:54 offset1:81
	s_waitcnt lgkmcnt(0)
	s_barrier
	ds_write2_b64 v112, v[6:7], v[12:13] offset1:45
	ds_write_b64 v112, v[8:9] offset:720
	v_add_f32_e32 v7, v15, v23
	v_add_f32_e32 v8, v22, v29
	;; [unrolled: 1-line block ×3, first 2 shown]
	v_fma_f32 v10, -0.5, v7, v10
	v_add_f32_e32 v7, v11, v22
	v_fmac_f32_e32 v11, -0.5, v8
	v_sub_f32_e32 v12, v22, v29
	v_sub_f32_e32 v13, v15, v23
	v_mov_b32_e32 v8, v10
	v_mov_b32_e32 v9, v11
	v_add_f32_e32 v6, v6, v23
	v_add_f32_e32 v7, v7, v29
	v_fmac_f32_e32 v8, 0xbf5db3d7, v12
	v_fmac_f32_e32 v9, 0x3f5db3d7, v13
	ds_write2_b64 v123, v[6:7], v[8:9] offset1:45
	v_add_f32_e32 v8, v14, v20
	v_add_f32_e32 v9, v21, v19
	v_fmac_f32_e32 v10, 0x3f5db3d7, v12
	v_fmac_f32_e32 v11, 0xbf5db3d7, v13
	v_add_f32_e32 v6, v0, v21
	v_add_f32_e32 v7, v1, v14
	v_fma_f32 v0, -0.5, v9, v0
	v_fma_f32 v1, -0.5, v8, v1
	ds_write_b64 v123, v[10:11] offset:720
	v_sub_f32_e32 v10, v14, v20
	v_sub_f32_e32 v11, v21, v19
	v_mov_b32_e32 v8, v0
	v_mov_b32_e32 v9, v1
	v_add_f32_e32 v6, v6, v19
	v_add_f32_e32 v7, v7, v20
	v_fmac_f32_e32 v8, 0xbf5db3d7, v10
	v_fmac_f32_e32 v9, 0x3f5db3d7, v11
	ds_write2_b64 v112, v[6:7], v[8:9] offset0:144 offset1:189
	v_add_f32_e32 v6, v28, v17
	v_add_f32_e32 v7, v2, v28
	v_fma_f32 v2, -0.5, v6, v2
	v_sub_f32_e32 v8, v16, v18
	v_mov_b32_e32 v6, v2
	v_fmac_f32_e32 v6, 0xbf5db3d7, v8
	v_fmac_f32_e32 v2, 0x3f5db3d7, v8
	v_add_f32_e32 v8, v7, v17
	v_add_f32_e32 v7, v3, v16
	;; [unrolled: 1-line block ×4, first 2 shown]
	v_fmac_f32_e32 v3, -0.5, v7
	v_fmac_f32_e32 v0, 0x3f5db3d7, v10
	v_sub_f32_e32 v10, v28, v17
	v_mov_b32_e32 v7, v3
	v_fmac_f32_e32 v7, 0x3f5db3d7, v10
	v_fmac_f32_e32 v3, 0xbf5db3d7, v10
	v_add_f32_e32 v10, v26, v24
	v_fmac_f32_e32 v1, 0xbf5db3d7, v11
	v_add_f32_e32 v11, v4, v26
	v_fma_f32 v4, -0.5, v10, v4
	v_sub_f32_e32 v12, v27, v25
	v_mov_b32_e32 v10, v4
	v_fmac_f32_e32 v10, 0xbf5db3d7, v12
	v_fmac_f32_e32 v4, 0x3f5db3d7, v12
	v_add_f32_e32 v12, v11, v24
	v_add_f32_e32 v11, v5, v27
	;; [unrolled: 1-line block ×4, first 2 shown]
	v_fmac_f32_e32 v5, -0.5, v11
	v_sub_f32_e32 v14, v26, v24
	v_mov_b32_e32 v11, v5
	v_fmac_f32_e32 v11, 0x3f5db3d7, v14
	v_fmac_f32_e32 v5, 0xbf5db3d7, v14
	ds_write_b64 v112, v[0:1] offset:1872
	ds_write2_b64 v122, v[8:9], v[6:7] offset1:45
	ds_write_b64 v122, v[2:3] offset:720
	ds_write2_b64 v125, v[12:13], v[10:11] offset0:14 offset1:59
	ds_write_b64 v124, v[4:5] offset:2880
	s_waitcnt lgkmcnt(0)
	s_barrier
	ds_read2_b64 v[0:3], v112 offset0:108 offset1:135
	ds_read2_b64 v[4:7], v112 offset1:27
	ds_read2_b64 v[8:11], v114 offset0:14 offset1:41
	ds_read2_b64 v[12:15], v112 offset0:162 offset1:189
	;; [unrolled: 1-line block ×3, first 2 shown]
	v_mad_u64_u32 v[20:21], s[6:7], s2, v100, 0
	s_waitcnt lgkmcnt(4)
	v_mul_f32_e32 v22, v41, v3
	v_fmac_f32_e32 v22, v40, v2
	v_mul_f32_e32 v2, v41, v2
	v_fma_f32 v23, v40, v3, -v2
	s_waitcnt lgkmcnt(2)
	v_mul_f32_e32 v2, v43, v8
	v_mul_f32_e32 v24, v43, v9
	v_fma_f32 v25, v42, v9, -v2
	v_mul_f32_e32 v26, v39, v11
	v_mul_f32_e32 v2, v39, v10
	v_fmac_f32_e32 v24, v42, v8
	v_fmac_f32_e32 v26, v38, v10
	v_fma_f32 v27, v38, v11, -v2
	ds_read2_b64 v[8:11], v114 offset0:68 offset1:95
	s_waitcnt lgkmcnt(2)
	v_mul_f32_e32 v2, v37, v12
	v_fma_f32 v29, v36, v13, -v2
	v_mul_f32_e32 v2, v49, v14
	v_fma_f32 v31, v48, v15, -v2
	s_waitcnt lgkmcnt(0)
	v_mul_f32_e32 v2, v51, v8
	v_fma_f32 v33, v50, v9, -v2
	v_mul_f32_e32 v2, v75, v10
	v_fma_f32 v35, v74, v11, -v2
	ds_read_b64 v[2:3], v112 offset:3024
	v_mul_f32_e32 v28, v37, v13
	v_mul_f32_e32 v30, v49, v15
	v_fmac_f32_e32 v28, v36, v12
	v_fmac_f32_e32 v30, v48, v14
	ds_read2_b64 v[12:15], v112 offset0:216 offset1:243
	s_waitcnt lgkmcnt(1)
	v_mul_f32_e32 v40, v79, v3
	v_mul_f32_e32 v32, v51, v9
	v_fmac_f32_e32 v40, v78, v2
	v_mul_f32_e32 v2, v79, v2
	v_fmac_f32_e32 v32, v50, v8
	s_waitcnt lgkmcnt(0)
	v_mul_f32_e32 v8, v73, v12
	v_fma_f32 v41, v78, v3, -v2
	v_add_f32_e32 v3, v22, v24
	v_fma_f32 v37, v72, v13, -v8
	v_mul_f32_e32 v8, v77, v14
	v_add_f32_e32 v2, v4, v22
	v_fma_f32 v4, -0.5, v3, v4
	v_fma_f32 v39, v76, v15, -v8
	v_sub_f32_e32 v3, v23, v25
	v_mov_b32_e32 v8, v4
	v_add_f32_e32 v9, v23, v25
	v_mul_f32_e32 v34, v75, v11
	v_fmac_f32_e32 v8, 0xbf5db3d7, v3
	v_fmac_f32_e32 v4, 0x3f5db3d7, v3
	v_add_f32_e32 v3, v5, v23
	v_fma_f32 v5, -0.5, v9, v5
	v_fmac_f32_e32 v34, v74, v10
	v_sub_f32_e32 v10, v22, v24
	v_mov_b32_e32 v9, v5
	v_add_f32_e32 v11, v28, v26
	v_mul_f32_e32 v36, v73, v13
	v_fmac_f32_e32 v9, 0x3f5db3d7, v10
	v_fmac_f32_e32 v5, 0xbf5db3d7, v10
	v_add_f32_e32 v10, v6, v28
	v_fma_f32 v6, -0.5, v11, v6
	v_fmac_f32_e32 v36, v72, v12
	v_sub_f32_e32 v11, v29, v27
	v_mov_b32_e32 v12, v6
	v_add_f32_e32 v13, v29, v27
	v_mul_f32_e32 v38, v77, v15
	v_fmac_f32_e32 v12, 0xbf5db3d7, v11
	v_fmac_f32_e32 v6, 0x3f5db3d7, v11
	v_add_f32_e32 v11, v7, v29
	v_fmac_f32_e32 v7, -0.5, v13
	v_fmac_f32_e32 v38, v76, v14
	v_sub_f32_e32 v14, v28, v26
	v_mov_b32_e32 v13, v7
	v_add_f32_e32 v15, v30, v32
	v_fmac_f32_e32 v13, 0x3f5db3d7, v14
	v_fmac_f32_e32 v7, 0xbf5db3d7, v14
	v_add_f32_e32 v14, v16, v30
	v_fma_f32 v16, -0.5, v15, v16
	v_sub_f32_e32 v15, v31, v33
	v_mov_b32_e32 v22, v16
	v_add_f32_e32 v23, v31, v33
	v_fmac_f32_e32 v22, 0xbf5db3d7, v15
	v_fmac_f32_e32 v16, 0x3f5db3d7, v15
	v_add_f32_e32 v15, v17, v31
	v_fma_f32 v17, -0.5, v23, v17
	v_add_f32_e32 v2, v2, v24
	v_add_f32_e32 v3, v3, v25
	v_sub_f32_e32 v24, v30, v32
	v_mov_b32_e32 v23, v17
	v_add_f32_e32 v25, v36, v34
	v_fmac_f32_e32 v23, 0x3f5db3d7, v24
	v_fmac_f32_e32 v17, 0xbf5db3d7, v24
	v_add_f32_e32 v24, v18, v36
	v_fma_f32 v18, -0.5, v25, v18
	v_add_f32_e32 v10, v10, v26
	v_add_f32_e32 v11, v11, v27
	v_sub_f32_e32 v25, v37, v35
	v_mov_b32_e32 v26, v18
	v_add_f32_e32 v27, v37, v35
	v_fmac_f32_e32 v26, 0xbf5db3d7, v25
	v_fmac_f32_e32 v18, 0x3f5db3d7, v25
	v_add_f32_e32 v25, v19, v37
	v_fmac_f32_e32 v19, -0.5, v27
	v_sub_f32_e32 v28, v36, v34
	v_mov_b32_e32 v27, v19
	v_add_f32_e32 v29, v38, v40
	v_fmac_f32_e32 v27, 0x3f5db3d7, v28
	v_fmac_f32_e32 v19, 0xbf5db3d7, v28
	v_add_f32_e32 v28, v0, v38
	v_fma_f32 v0, -0.5, v29, v0
	v_sub_f32_e32 v29, v39, v41
	v_mov_b32_e32 v30, v0
	v_add_f32_e32 v31, v39, v41
	v_add_f32_e32 v14, v14, v32
	v_fmac_f32_e32 v30, 0xbf5db3d7, v29
	v_fmac_f32_e32 v0, 0x3f5db3d7, v29
	v_add_f32_e32 v29, v1, v39
	v_fmac_f32_e32 v1, -0.5, v31
	v_sub_f32_e32 v32, v38, v40
	v_mov_b32_e32 v31, v1
	v_fmac_f32_e32 v1, 0xbf5db3d7, v32
	v_add_f32_e32 v15, v15, v33
	v_add_f32_e32 v24, v24, v34
	;; [unrolled: 1-line block ×5, first 2 shown]
	v_fmac_f32_e32 v31, 0x3f5db3d7, v32
	ds_write_b64 v112, v[8:9] offset:1080
	ds_write_b64 v112, v[4:5] offset:2160
	ds_write2_b64 v112, v[2:3], v[10:11] offset1:27
	ds_write2_b64 v112, v[12:13], v[22:23] offset0:162 offset1:189
	ds_write2_b64 v114, v[6:7], v[16:17] offset0:41 offset1:68
	ds_write2_b64 v112, v[14:15], v[24:25] offset0:54 offset1:81
	ds_write_b64 v112, v[18:19] offset:2808
	ds_write_b64 v112, v[28:29] offset:864
	ds_write2_b64 v112, v[26:27], v[30:31] offset0:216 offset1:243
	ds_write_b64 v112, v[0:1] offset:3024
	s_waitcnt lgkmcnt(0)
	s_barrier
	ds_read2_b64 v[0:3], v112 offset1:27
	v_mov_b32_e32 v4, v21
	v_mad_u64_u32 v[4:5], s[2:3], s3, v100, v[4:5]
	s_mov_b32 s2, 0x30abee4d
	s_waitcnt lgkmcnt(0)
	v_mul_f32_e32 v5, v110, v1
	v_fmac_f32_e32 v5, v109, v0
	v_cvt_f64_f32_e32 v[5:6], v5
	s_mov_b32 s3, 0x3f643a27
	v_mul_f32_e32 v0, v110, v0
	v_fma_f32 v0, v109, v1, -v0
	v_mul_f64 v[5:6], v[5:6], s[2:3]
	v_mad_u64_u32 v[8:9], s[6:7], s0, v113, 0
	v_cvt_f64_f32_e32 v[0:1], v0
	v_mov_b32_e32 v21, v4
	v_mov_b32_e32 v4, v9
	;; [unrolled: 1-line block ×3, first 2 shown]
	v_mul_f64 v[0:1], v[0:1], s[2:3]
	v_mad_u64_u32 v[9:10], s[6:7], s1, v113, v[4:5]
	v_cvt_f32_f64_e32 v10, v[5:6]
	ds_read2_b64 v[4:7], v112 offset0:54 offset1:81
	v_lshlrev_b64 v[8:9], 3, v[8:9]
	s_mul_hi_u32 s5, s0, 0x288
	v_cvt_f32_f64_e32 v11, v[0:1]
	s_waitcnt lgkmcnt(0)
	v_mul_f32_e32 v12, v108, v7
	v_fmac_f32_e32 v12, v107, v6
	v_mul_f32_e32 v6, v108, v6
	v_lshlrev_b64 v[0:1], 3, v[20:21]
	v_fma_f32 v6, v107, v7, -v6
	v_cvt_f64_f32_e32 v[12:13], v12
	v_cvt_f64_f32_e32 v[6:7], v6
	v_add_co_u32_e32 v15, vcc, s4, v0
	v_addc_co_u32_e32 v16, vcc, v14, v1, vcc
	v_add_co_u32_e32 v14, vcc, v15, v8
	v_mul_f64 v[0:1], v[12:13], s[2:3]
	v_mul_f64 v[12:13], v[6:7], s[2:3]
	v_addc_co_u32_e32 v15, vcc, v16, v9, vcc
	ds_read2_b64 v[6:9], v112 offset0:162 offset1:189
	global_store_dwordx2 v[14:15], v[10:11], off
	s_mul_i32 s4, s1, 0x288
	s_add_i32 s4, s5, s4
	s_mul_i32 s5, s0, 0x288
	s_waitcnt lgkmcnt(0)
	v_mul_f32_e32 v10, v106, v7
	v_fmac_f32_e32 v10, v105, v6
	v_mul_f32_e32 v6, v106, v6
	v_fma_f32 v6, v105, v7, -v6
	v_cvt_f64_f32_e32 v[6:7], v6
	v_cvt_f64_f32_e32 v[10:11], v10
	v_cvt_f32_f64_e32 v0, v[0:1]
	v_cvt_f32_f64_e32 v1, v[12:13]
	v_mul_f64 v[6:7], v[6:7], s[2:3]
	v_mov_b32_e32 v12, s4
	v_add_co_u32_e32 v18, vcc, s5, v14
	v_mul_f64 v[16:17], v[10:11], s[2:3]
	v_addc_co_u32_e32 v19, vcc, v15, v12, vcc
	ds_read2_b64 v[10:13], v112 offset0:216 offset1:243
	global_store_dwordx2 v[18:19], v[0:1], off
	v_cvt_f32_f64_e32 v1, v[6:7]
	v_mov_b32_e32 v20, s4
	v_add_co_u32_e32 v18, vcc, s5, v18
	s_waitcnt lgkmcnt(0)
	v_mul_f32_e32 v6, v102, v13
	v_fmac_f32_e32 v6, v101, v12
	v_mul_f32_e32 v12, v102, v12
	v_fma_f32 v12, v101, v13, -v12
	v_cvt_f32_f64_e32 v0, v[16:17]
	v_cvt_f64_f32_e32 v[6:7], v6
	v_cvt_f64_f32_e32 v[16:17], v12
	ds_read2_b64 v[12:15], v114 offset0:68 offset1:95
	v_addc_co_u32_e32 v19, vcc, v19, v20, vcc
	global_store_dwordx2 v[18:19], v[0:1], off
	v_mul_f64 v[0:1], v[6:7], s[2:3]
	v_mul_f64 v[6:7], v[16:17], s[2:3]
	s_waitcnt lgkmcnt(0)
	v_mul_f32_e32 v16, v104, v13
	v_fmac_f32_e32 v16, v103, v12
	v_mul_f32_e32 v12, v104, v12
	v_fma_f32 v12, v103, v13, -v12
	v_cvt_f64_f32_e32 v[16:17], v16
	v_cvt_f64_f32_e32 v[12:13], v12
	v_cvt_f32_f64_e32 v0, v[0:1]
	v_cvt_f32_f64_e32 v1, v[6:7]
	v_mul_f64 v[6:7], v[16:17], s[2:3]
	v_mul_f64 v[12:13], v[12:13], s[2:3]
	v_mov_b32_e32 v17, s4
	v_add_co_u32_e32 v16, vcc, s5, v18
	v_addc_co_u32_e32 v17, vcc, v19, v17, vcc
	global_store_dwordx2 v[16:17], v[0:1], off
	v_mul_f32_e32 v0, v99, v3
	v_fmac_f32_e32 v0, v98, v2
	v_cvt_f32_f64_e32 v6, v[6:7]
	v_cvt_f32_f64_e32 v7, v[12:13]
	v_cvt_f64_f32_e32 v[12:13], v0
	v_mul_f32_e32 v0, v99, v2
	v_fma_f32 v0, v98, v3, -v0
	v_cvt_f64_f32_e32 v[18:19], v0
	ds_read2_b64 v[0:3], v112 offset0:108 offset1:135
	v_add_co_u32_e32 v16, vcc, s5, v16
	v_mul_f64 v[12:13], v[12:13], s[2:3]
	v_addc_co_u32_e32 v17, vcc, v17, v20, vcc
	s_waitcnt lgkmcnt(0)
	v_mul_f32_e32 v20, v97, v1
	v_fmac_f32_e32 v20, v96, v0
	v_mul_f32_e32 v0, v97, v0
	v_fma_f32 v0, v96, v1, -v0
	v_mul_f64 v[18:19], v[18:19], s[2:3]
	v_cvt_f64_f32_e32 v[20:21], v20
	v_cvt_f64_f32_e32 v[0:1], v0
	global_store_dwordx2 v[16:17], v[6:7], off
	v_cvt_f32_f64_e32 v6, v[12:13]
	v_mul_f64 v[12:13], v[20:21], s[2:3]
	v_mul_f64 v[0:1], v[0:1], s[2:3]
	v_mad_u64_u32 v[16:17], s[6:7], s0, v111, v[16:17]
	v_cvt_f32_f64_e32 v7, v[18:19]
	s_mulk_i32 s1, 0xf6b8
	s_sub_i32 s6, s1, s0
	v_add_u32_e32 v17, s6, v17
	global_store_dwordx2 v[16:17], v[6:7], off
	v_cvt_f32_f64_e32 v12, v[12:13]
	v_cvt_f32_f64_e32 v13, v[0:1]
	v_mul_f32_e32 v0, v93, v9
	v_mul_f32_e32 v6, v93, v8
	v_fmac_f32_e32 v0, v92, v8
	v_fma_f32 v6, v92, v9, -v6
	v_cvt_f64_f32_e32 v[0:1], v0
	v_cvt_f64_f32_e32 v[18:19], v6
	ds_read2_b64 v[6:9], v114 offset0:14 offset1:41
	v_mov_b32_e32 v20, s4
	v_add_co_u32_e32 v16, vcc, s5, v16
	v_addc_co_u32_e32 v17, vcc, v17, v20, vcc
	global_store_dwordx2 v[16:17], v[12:13], off
	v_mul_f64 v[0:1], v[0:1], s[2:3]
	v_mul_f64 v[12:13], v[18:19], s[2:3]
	s_waitcnt lgkmcnt(0)
	v_mul_f32_e32 v18, v95, v7
	v_fmac_f32_e32 v18, v94, v6
	v_mul_f32_e32 v6, v95, v6
	v_fma_f32 v6, v94, v7, -v6
	v_cvt_f64_f32_e32 v[18:19], v18
	v_cvt_f64_f32_e32 v[6:7], v6
	v_cvt_f32_f64_e32 v0, v[0:1]
	v_cvt_f32_f64_e32 v1, v[12:13]
	v_mul_f64 v[12:13], v[18:19], s[2:3]
	v_mul_f64 v[6:7], v[6:7], s[2:3]
	v_mov_b32_e32 v18, s4
	v_add_co_u32_e32 v16, vcc, s5, v16
	v_addc_co_u32_e32 v17, vcc, v17, v18, vcc
	global_store_dwordx2 v[16:17], v[0:1], off
	v_cvt_f32_f64_e32 v0, v[12:13]
	v_cvt_f32_f64_e32 v1, v[6:7]
	v_mul_f32_e32 v6, v91, v15
	v_mul_f32_e32 v12, v91, v14
	v_fmac_f32_e32 v6, v90, v14
	v_fma_f32 v12, v90, v15, -v12
	v_cvt_f64_f32_e32 v[6:7], v6
	v_cvt_f64_f32_e32 v[12:13], v12
	v_add_co_u32_e32 v14, vcc, s5, v16
	v_addc_co_u32_e32 v15, vcc, v17, v18, vcc
	global_store_dwordx2 v[14:15], v[0:1], off
	v_mul_f64 v[0:1], v[6:7], s[2:3]
	v_mul_f64 v[6:7], v[12:13], s[2:3]
	v_mul_f32_e32 v12, v87, v5
	v_fmac_f32_e32 v12, v86, v4
	v_cvt_f64_f32_e32 v[12:13], v12
	v_mul_f32_e32 v4, v87, v4
	v_fma_f32 v4, v86, v5, -v4
	v_cvt_f64_f32_e32 v[4:5], v4
	v_cvt_f32_f64_e32 v0, v[0:1]
	v_cvt_f32_f64_e32 v1, v[6:7]
	v_mul_f64 v[6:7], v[12:13], s[2:3]
	v_mul_f64 v[4:5], v[4:5], s[2:3]
	v_mov_b32_e32 v13, s4
	v_add_co_u32_e32 v12, vcc, s5, v14
	v_addc_co_u32_e32 v13, vcc, v15, v13, vcc
	global_store_dwordx2 v[12:13], v[0:1], off
	v_cvt_f32_f64_e32 v0, v[6:7]
	v_mul_f32_e32 v6, v85, v3
	v_fmac_f32_e32 v6, v84, v2
	v_mul_f32_e32 v2, v85, v2
	v_cvt_f32_f64_e32 v1, v[4:5]
	v_mad_u64_u32 v[4:5], s[0:1], s0, v111, v[12:13]
	v_fma_f32 v2, v84, v3, -v2
	v_cvt_f64_f32_e32 v[6:7], v6
	v_cvt_f64_f32_e32 v[2:3], v2
	v_add_u32_e32 v5, s6, v5
	global_store_dwordx2 v[4:5], v[0:1], off
	v_mul_f64 v[0:1], v[6:7], s[2:3]
	v_mul_f64 v[2:3], v[2:3], s[2:3]
	v_mul_f32_e32 v6, v89, v11
	v_fmac_f32_e32 v6, v88, v10
	v_mul_f32_e32 v10, v89, v10
	v_fma_f32 v10, v88, v11, -v10
	v_cvt_f64_f32_e32 v[6:7], v6
	v_cvt_f64_f32_e32 v[10:11], v10
	v_cvt_f32_f64_e32 v0, v[0:1]
	v_cvt_f32_f64_e32 v1, v[2:3]
	v_mul_f64 v[2:3], v[6:7], s[2:3]
	v_mul_f64 v[6:7], v[10:11], s[2:3]
	v_mov_b32_e32 v10, s4
	v_add_co_u32_e32 v4, vcc, s5, v4
	v_addc_co_u32_e32 v5, vcc, v5, v10, vcc
	global_store_dwordx2 v[4:5], v[0:1], off
	v_cvt_f32_f64_e32 v0, v[2:3]
	v_cvt_f32_f64_e32 v1, v[6:7]
	v_mul_f32_e32 v2, v83, v9
	v_mul_f32_e32 v6, v83, v8
	v_fmac_f32_e32 v2, v82, v8
	v_fma_f32 v6, v82, v9, -v6
	v_cvt_f64_f32_e32 v[2:3], v2
	v_cvt_f64_f32_e32 v[6:7], v6
	ds_read_b64 v[8:9], v112 offset:3024
	v_add_co_u32_e32 v4, vcc, s5, v4
	v_addc_co_u32_e32 v5, vcc, v5, v10, vcc
	global_store_dwordx2 v[4:5], v[0:1], off
	v_mul_f64 v[0:1], v[2:3], s[2:3]
	v_mul_f64 v[2:3], v[6:7], s[2:3]
	s_waitcnt lgkmcnt(0)
	v_mul_f32_e32 v6, v81, v9
	v_fmac_f32_e32 v6, v80, v8
	v_mul_f32_e32 v8, v81, v8
	v_fma_f32 v8, v80, v9, -v8
	v_cvt_f64_f32_e32 v[6:7], v6
	v_cvt_f64_f32_e32 v[8:9], v8
	v_cvt_f32_f64_e32 v0, v[0:1]
	v_cvt_f32_f64_e32 v1, v[2:3]
	v_mul_f64 v[2:3], v[6:7], s[2:3]
	v_mul_f64 v[6:7], v[8:9], s[2:3]
	v_mov_b32_e32 v8, s4
	v_add_co_u32_e32 v4, vcc, s5, v4
	v_addc_co_u32_e32 v5, vcc, v5, v8, vcc
	global_store_dwordx2 v[4:5], v[0:1], off
	v_cvt_f32_f64_e32 v0, v[2:3]
	v_cvt_f32_f64_e32 v1, v[6:7]
	v_mov_b32_e32 v3, s4
	v_add_co_u32_e32 v2, vcc, s5, v4
	v_addc_co_u32_e32 v3, vcc, v5, v3, vcc
	global_store_dwordx2 v[2:3], v[0:1], off
.LBB0_2:
	s_endpgm
	.section	.rodata,"a",@progbits
	.p2align	6, 0x0
	.amdhsa_kernel bluestein_single_fwd_len405_dim1_sp_op_CI_CI
		.amdhsa_group_segment_fixed_size 12960
		.amdhsa_private_segment_fixed_size 0
		.amdhsa_kernarg_size 104
		.amdhsa_user_sgpr_count 6
		.amdhsa_user_sgpr_private_segment_buffer 1
		.amdhsa_user_sgpr_dispatch_ptr 0
		.amdhsa_user_sgpr_queue_ptr 0
		.amdhsa_user_sgpr_kernarg_segment_ptr 1
		.amdhsa_user_sgpr_dispatch_id 0
		.amdhsa_user_sgpr_flat_scratch_init 0
		.amdhsa_user_sgpr_private_segment_size 0
		.amdhsa_uses_dynamic_stack 0
		.amdhsa_system_sgpr_private_segment_wavefront_offset 0
		.amdhsa_system_sgpr_workgroup_id_x 1
		.amdhsa_system_sgpr_workgroup_id_y 0
		.amdhsa_system_sgpr_workgroup_id_z 0
		.amdhsa_system_sgpr_workgroup_info 0
		.amdhsa_system_vgpr_workitem_id 0
		.amdhsa_next_free_vgpr 174
		.amdhsa_next_free_sgpr 20
		.amdhsa_reserve_vcc 1
		.amdhsa_reserve_flat_scratch 0
		.amdhsa_float_round_mode_32 0
		.amdhsa_float_round_mode_16_64 0
		.amdhsa_float_denorm_mode_32 3
		.amdhsa_float_denorm_mode_16_64 3
		.amdhsa_dx10_clamp 1
		.amdhsa_ieee_mode 1
		.amdhsa_fp16_overflow 0
		.amdhsa_exception_fp_ieee_invalid_op 0
		.amdhsa_exception_fp_denorm_src 0
		.amdhsa_exception_fp_ieee_div_zero 0
		.amdhsa_exception_fp_ieee_overflow 0
		.amdhsa_exception_fp_ieee_underflow 0
		.amdhsa_exception_fp_ieee_inexact 0
		.amdhsa_exception_int_div_zero 0
	.end_amdhsa_kernel
	.text
.Lfunc_end0:
	.size	bluestein_single_fwd_len405_dim1_sp_op_CI_CI, .Lfunc_end0-bluestein_single_fwd_len405_dim1_sp_op_CI_CI
                                        ; -- End function
	.section	.AMDGPU.csdata,"",@progbits
; Kernel info:
; codeLenInByte = 12972
; NumSgprs: 24
; NumVgprs: 174
; ScratchSize: 0
; MemoryBound: 0
; FloatMode: 240
; IeeeMode: 1
; LDSByteSize: 12960 bytes/workgroup (compile time only)
; SGPRBlocks: 2
; VGPRBlocks: 43
; NumSGPRsForWavesPerEU: 24
; NumVGPRsForWavesPerEU: 174
; Occupancy: 1
; WaveLimiterHint : 1
; COMPUTE_PGM_RSRC2:SCRATCH_EN: 0
; COMPUTE_PGM_RSRC2:USER_SGPR: 6
; COMPUTE_PGM_RSRC2:TRAP_HANDLER: 0
; COMPUTE_PGM_RSRC2:TGID_X_EN: 1
; COMPUTE_PGM_RSRC2:TGID_Y_EN: 0
; COMPUTE_PGM_RSRC2:TGID_Z_EN: 0
; COMPUTE_PGM_RSRC2:TIDIG_COMP_CNT: 0
	.type	__hip_cuid_95a8fecf5273a406,@object ; @__hip_cuid_95a8fecf5273a406
	.section	.bss,"aw",@nobits
	.globl	__hip_cuid_95a8fecf5273a406
__hip_cuid_95a8fecf5273a406:
	.byte	0                               ; 0x0
	.size	__hip_cuid_95a8fecf5273a406, 1

	.ident	"AMD clang version 19.0.0git (https://github.com/RadeonOpenCompute/llvm-project roc-6.4.0 25133 c7fe45cf4b819c5991fe208aaa96edf142730f1d)"
	.section	".note.GNU-stack","",@progbits
	.addrsig
	.addrsig_sym __hip_cuid_95a8fecf5273a406
	.amdgpu_metadata
---
amdhsa.kernels:
  - .args:
      - .actual_access:  read_only
        .address_space:  global
        .offset:         0
        .size:           8
        .value_kind:     global_buffer
      - .actual_access:  read_only
        .address_space:  global
        .offset:         8
        .size:           8
        .value_kind:     global_buffer
      - .actual_access:  read_only
        .address_space:  global
        .offset:         16
        .size:           8
        .value_kind:     global_buffer
      - .actual_access:  read_only
        .address_space:  global
        .offset:         24
        .size:           8
        .value_kind:     global_buffer
      - .actual_access:  read_only
        .address_space:  global
        .offset:         32
        .size:           8
        .value_kind:     global_buffer
      - .offset:         40
        .size:           8
        .value_kind:     by_value
      - .address_space:  global
        .offset:         48
        .size:           8
        .value_kind:     global_buffer
      - .address_space:  global
        .offset:         56
        .size:           8
        .value_kind:     global_buffer
      - .address_space:  global
        .offset:         64
        .size:           8
        .value_kind:     global_buffer
      - .address_space:  global
        .offset:         72
        .size:           8
        .value_kind:     global_buffer
      - .offset:         80
        .size:           4
        .value_kind:     by_value
      - .address_space:  global
        .offset:         88
        .size:           8
        .value_kind:     global_buffer
      - .address_space:  global
        .offset:         96
        .size:           8
        .value_kind:     global_buffer
    .group_segment_fixed_size: 12960
    .kernarg_segment_align: 8
    .kernarg_segment_size: 104
    .language:       OpenCL C
    .language_version:
      - 2
      - 0
    .max_flat_workgroup_size: 108
    .name:           bluestein_single_fwd_len405_dim1_sp_op_CI_CI
    .private_segment_fixed_size: 0
    .sgpr_count:     24
    .sgpr_spill_count: 0
    .symbol:         bluestein_single_fwd_len405_dim1_sp_op_CI_CI.kd
    .uniform_work_group_size: 1
    .uses_dynamic_stack: false
    .vgpr_count:     174
    .vgpr_spill_count: 0
    .wavefront_size: 64
amdhsa.target:   amdgcn-amd-amdhsa--gfx906
amdhsa.version:
  - 1
  - 2
...

	.end_amdgpu_metadata
